;; amdgpu-corpus repo=ROCm/rocFFT kind=compiled arch=gfx1030 opt=O3
	.text
	.amdgcn_target "amdgcn-amd-amdhsa--gfx1030"
	.amdhsa_code_object_version 6
	.protected	fft_rtc_fwd_len1275_factors_17_3_5_5_wgs_255_tpt_85_halfLds_dp_op_CI_CI_unitstride_sbrr_dirReg ; -- Begin function fft_rtc_fwd_len1275_factors_17_3_5_5_wgs_255_tpt_85_halfLds_dp_op_CI_CI_unitstride_sbrr_dirReg
	.globl	fft_rtc_fwd_len1275_factors_17_3_5_5_wgs_255_tpt_85_halfLds_dp_op_CI_CI_unitstride_sbrr_dirReg
	.p2align	8
	.type	fft_rtc_fwd_len1275_factors_17_3_5_5_wgs_255_tpt_85_halfLds_dp_op_CI_CI_unitstride_sbrr_dirReg,@function
fft_rtc_fwd_len1275_factors_17_3_5_5_wgs_255_tpt_85_halfLds_dp_op_CI_CI_unitstride_sbrr_dirReg: ; @fft_rtc_fwd_len1275_factors_17_3_5_5_wgs_255_tpt_85_halfLds_dp_op_CI_CI_unitstride_sbrr_dirReg
; %bb.0:
	s_load_dwordx4 s[12:15], s[4:5], 0x0
	v_mul_u32_u24_e32 v1, 0x304, v0
	s_clause 0x1
	s_load_dwordx4 s[8:11], s[4:5], 0x58
	s_load_dwordx4 s[16:19], s[4:5], 0x18
	v_mov_b32_e32 v4, 0
	v_mov_b32_e32 v5, 0
	v_lshrrev_b32_e32 v2, 16, v1
	v_mov_b32_e32 v1, 0
	v_mov_b32_e32 v97, v5
	;; [unrolled: 1-line block ×3, first 2 shown]
	v_mad_u64_u32 v[68:69], null, s6, 3, v[2:3]
	v_mov_b32_e32 v69, v1
	v_mov_b32_e32 v101, v69
	;; [unrolled: 1-line block ×3, first 2 shown]
	s_waitcnt lgkmcnt(0)
	v_cmp_lt_u64_e64 s0, s[14:15], 2
	s_and_b32 vcc_lo, exec_lo, s0
	s_cbranch_vccnz .LBB0_8
; %bb.1:
	s_load_dwordx2 s[0:1], s[4:5], 0x10
	v_mov_b32_e32 v4, 0
	v_mov_b32_e32 v5, 0
	s_add_u32 s2, s18, 8
	v_mov_b32_e32 v6, v68
	s_addc_u32 s3, s19, 0
	v_mov_b32_e32 v7, v69
	v_mov_b32_e32 v97, v5
	s_add_u32 s6, s16, 8
	v_mov_b32_e32 v96, v4
	s_addc_u32 s7, s17, 0
	s_mov_b64 s[22:23], 1
	s_waitcnt lgkmcnt(0)
	s_add_u32 s20, s0, 8
	s_addc_u32 s21, s1, 0
.LBB0_2:                                ; =>This Inner Loop Header: Depth=1
	s_load_dwordx2 s[24:25], s[20:21], 0x0
                                        ; implicit-def: $vgpr100_vgpr101
	s_mov_b32 s0, exec_lo
	s_waitcnt lgkmcnt(0)
	v_or_b32_e32 v2, s25, v7
	v_cmpx_ne_u64_e32 0, v[1:2]
	s_xor_b32 s1, exec_lo, s0
	s_cbranch_execz .LBB0_4
; %bb.3:                                ;   in Loop: Header=BB0_2 Depth=1
	v_cvt_f32_u32_e32 v2, s24
	v_cvt_f32_u32_e32 v3, s25
	s_sub_u32 s0, 0, s24
	s_subb_u32 s26, 0, s25
	v_fmac_f32_e32 v2, 0x4f800000, v3
	v_rcp_f32_e32 v2, v2
	v_mul_f32_e32 v2, 0x5f7ffffc, v2
	v_mul_f32_e32 v3, 0x2f800000, v2
	v_trunc_f32_e32 v3, v3
	v_fmac_f32_e32 v2, 0xcf800000, v3
	v_cvt_u32_f32_e32 v3, v3
	v_cvt_u32_f32_e32 v2, v2
	v_mul_lo_u32 v8, s0, v3
	v_mul_hi_u32 v9, s0, v2
	v_mul_lo_u32 v10, s26, v2
	v_add_nc_u32_e32 v8, v9, v8
	v_mul_lo_u32 v9, s0, v2
	v_add_nc_u32_e32 v8, v8, v10
	v_mul_hi_u32 v10, v2, v9
	v_mul_lo_u32 v11, v2, v8
	v_mul_hi_u32 v12, v2, v8
	v_mul_hi_u32 v13, v3, v9
	v_mul_lo_u32 v9, v3, v9
	v_mul_hi_u32 v14, v3, v8
	v_mul_lo_u32 v8, v3, v8
	v_add_co_u32 v10, vcc_lo, v10, v11
	v_add_co_ci_u32_e32 v11, vcc_lo, 0, v12, vcc_lo
	v_add_co_u32 v9, vcc_lo, v10, v9
	v_add_co_ci_u32_e32 v9, vcc_lo, v11, v13, vcc_lo
	v_add_co_ci_u32_e32 v10, vcc_lo, 0, v14, vcc_lo
	v_add_co_u32 v8, vcc_lo, v9, v8
	v_add_co_ci_u32_e32 v9, vcc_lo, 0, v10, vcc_lo
	v_add_co_u32 v2, vcc_lo, v2, v8
	v_add_co_ci_u32_e32 v3, vcc_lo, v3, v9, vcc_lo
	v_mul_hi_u32 v8, s0, v2
	v_mul_lo_u32 v10, s26, v2
	v_mul_lo_u32 v9, s0, v3
	v_add_nc_u32_e32 v8, v8, v9
	v_mul_lo_u32 v9, s0, v2
	v_add_nc_u32_e32 v8, v8, v10
	v_mul_hi_u32 v10, v2, v9
	v_mul_lo_u32 v11, v2, v8
	v_mul_hi_u32 v12, v2, v8
	v_mul_hi_u32 v13, v3, v9
	v_mul_lo_u32 v9, v3, v9
	v_mul_hi_u32 v14, v3, v8
	v_mul_lo_u32 v8, v3, v8
	v_add_co_u32 v10, vcc_lo, v10, v11
	v_add_co_ci_u32_e32 v11, vcc_lo, 0, v12, vcc_lo
	v_add_co_u32 v9, vcc_lo, v10, v9
	v_add_co_ci_u32_e32 v9, vcc_lo, v11, v13, vcc_lo
	v_add_co_ci_u32_e32 v10, vcc_lo, 0, v14, vcc_lo
	v_add_co_u32 v8, vcc_lo, v9, v8
	v_add_co_ci_u32_e32 v9, vcc_lo, 0, v10, vcc_lo
	v_add_co_u32 v8, vcc_lo, v2, v8
	v_add_co_ci_u32_e32 v10, vcc_lo, v3, v9, vcc_lo
	v_mul_hi_u32 v12, v6, v8
	v_mad_u64_u32 v[8:9], null, v7, v8, 0
	v_mad_u64_u32 v[2:3], null, v6, v10, 0
	;; [unrolled: 1-line block ×3, first 2 shown]
	v_add_co_u32 v2, vcc_lo, v12, v2
	v_add_co_ci_u32_e32 v3, vcc_lo, 0, v3, vcc_lo
	v_add_co_u32 v2, vcc_lo, v2, v8
	v_add_co_ci_u32_e32 v2, vcc_lo, v3, v9, vcc_lo
	v_add_co_ci_u32_e32 v3, vcc_lo, 0, v11, vcc_lo
	v_add_co_u32 v8, vcc_lo, v2, v10
	v_add_co_ci_u32_e32 v9, vcc_lo, 0, v3, vcc_lo
	v_mul_lo_u32 v10, s25, v8
	v_mad_u64_u32 v[2:3], null, s24, v8, 0
	v_mul_lo_u32 v11, s24, v9
	v_sub_co_u32 v2, vcc_lo, v6, v2
	v_add3_u32 v3, v3, v11, v10
	v_sub_nc_u32_e32 v10, v7, v3
	v_subrev_co_ci_u32_e64 v10, s0, s25, v10, vcc_lo
	v_add_co_u32 v11, s0, v8, 2
	v_add_co_ci_u32_e64 v12, s0, 0, v9, s0
	v_sub_co_u32 v13, s0, v2, s24
	v_sub_co_ci_u32_e32 v3, vcc_lo, v7, v3, vcc_lo
	v_subrev_co_ci_u32_e64 v10, s0, 0, v10, s0
	v_cmp_le_u32_e32 vcc_lo, s24, v13
	v_cmp_eq_u32_e64 s0, s25, v3
	v_cndmask_b32_e64 v13, 0, -1, vcc_lo
	v_cmp_le_u32_e32 vcc_lo, s25, v10
	v_cndmask_b32_e64 v14, 0, -1, vcc_lo
	v_cmp_le_u32_e32 vcc_lo, s24, v2
	;; [unrolled: 2-line block ×3, first 2 shown]
	v_cndmask_b32_e64 v15, 0, -1, vcc_lo
	v_cmp_eq_u32_e32 vcc_lo, s25, v10
	v_cndmask_b32_e64 v2, v15, v2, s0
	v_cndmask_b32_e32 v10, v14, v13, vcc_lo
	v_add_co_u32 v13, vcc_lo, v8, 1
	v_add_co_ci_u32_e32 v14, vcc_lo, 0, v9, vcc_lo
	v_cmp_ne_u32_e32 vcc_lo, 0, v10
	v_cndmask_b32_e32 v3, v14, v12, vcc_lo
	v_cndmask_b32_e32 v10, v13, v11, vcc_lo
	v_cmp_ne_u32_e32 vcc_lo, 0, v2
	v_cndmask_b32_e32 v101, v9, v3, vcc_lo
	v_cndmask_b32_e32 v100, v8, v10, vcc_lo
.LBB0_4:                                ;   in Loop: Header=BB0_2 Depth=1
	s_andn2_saveexec_b32 s0, s1
	s_cbranch_execz .LBB0_6
; %bb.5:                                ;   in Loop: Header=BB0_2 Depth=1
	v_cvt_f32_u32_e32 v2, s24
	s_sub_i32 s1, 0, s24
	v_mov_b32_e32 v101, v1
	v_rcp_iflag_f32_e32 v2, v2
	v_mul_f32_e32 v2, 0x4f7ffffe, v2
	v_cvt_u32_f32_e32 v2, v2
	v_mul_lo_u32 v3, s1, v2
	v_mul_hi_u32 v3, v2, v3
	v_add_nc_u32_e32 v2, v2, v3
	v_mul_hi_u32 v2, v6, v2
	v_mul_lo_u32 v3, v2, s24
	v_add_nc_u32_e32 v8, 1, v2
	v_sub_nc_u32_e32 v3, v6, v3
	v_subrev_nc_u32_e32 v9, s24, v3
	v_cmp_le_u32_e32 vcc_lo, s24, v3
	v_cndmask_b32_e32 v3, v3, v9, vcc_lo
	v_cndmask_b32_e32 v2, v2, v8, vcc_lo
	v_cmp_le_u32_e32 vcc_lo, s24, v3
	v_add_nc_u32_e32 v8, 1, v2
	v_cndmask_b32_e32 v100, v2, v8, vcc_lo
.LBB0_6:                                ;   in Loop: Header=BB0_2 Depth=1
	s_or_b32 exec_lo, exec_lo, s0
	v_mul_lo_u32 v8, v101, s24
	v_mul_lo_u32 v9, v100, s25
	s_load_dwordx2 s[0:1], s[6:7], 0x0
	v_mad_u64_u32 v[2:3], null, v100, s24, 0
	s_load_dwordx2 s[24:25], s[2:3], 0x0
	s_add_u32 s22, s22, 1
	s_addc_u32 s23, s23, 0
	s_add_u32 s2, s2, 8
	s_addc_u32 s3, s3, 0
	s_add_u32 s6, s6, 8
	v_add3_u32 v3, v3, v9, v8
	v_sub_co_u32 v2, vcc_lo, v6, v2
	s_addc_u32 s7, s7, 0
	s_add_u32 s20, s20, 8
	v_sub_co_ci_u32_e32 v3, vcc_lo, v7, v3, vcc_lo
	s_addc_u32 s21, s21, 0
	s_waitcnt lgkmcnt(0)
	v_mul_lo_u32 v6, s0, v3
	v_mul_lo_u32 v7, s1, v2
	v_mad_u64_u32 v[4:5], null, s0, v2, v[4:5]
	v_mul_lo_u32 v3, s24, v3
	v_mul_lo_u32 v8, s25, v2
	v_mad_u64_u32 v[96:97], null, s24, v2, v[96:97]
	v_cmp_ge_u64_e64 s0, s[22:23], s[14:15]
	v_add3_u32 v5, v7, v5, v6
	v_add3_u32 v97, v8, v97, v3
	s_and_b32 vcc_lo, exec_lo, s0
	s_cbranch_vccnz .LBB0_8
; %bb.7:                                ;   in Loop: Header=BB0_2 Depth=1
	v_mov_b32_e32 v6, v100
	v_mov_b32_e32 v7, v101
	s_branch .LBB0_2
.LBB0_8:
	s_load_dwordx2 s[0:1], s[4:5], 0x28
	v_mul_hi_u32 v1, 0x3030304, v0
	s_lshl_b64 s[4:5], s[14:15], 3
                                        ; implicit-def: $vgpr14_vgpr15
                                        ; implicit-def: $vgpr54_vgpr55
                                        ; implicit-def: $vgpr58_vgpr59
                                        ; implicit-def: $vgpr62_vgpr63
                                        ; implicit-def: $vgpr66_vgpr67
                                        ; implicit-def: $vgpr26_vgpr27
                                        ; implicit-def: $vgpr34_vgpr35
                                        ; implicit-def: $vgpr46_vgpr47
                                        ; implicit-def: $vgpr50_vgpr51
                                        ; implicit-def: $vgpr42_vgpr43
                                        ; implicit-def: $vgpr38_vgpr39
                                        ; implicit-def: $vgpr30_vgpr31
                                        ; implicit-def: $vgpr22_vgpr23
                                        ; implicit-def: $vgpr18_vgpr19
                                        ; implicit-def: $vgpr10_vgpr11
                                        ; implicit-def: $vgpr6_vgpr7
                                        ; implicit-def: $vgpr2_vgpr3
	s_add_u32 s2, s18, s4
	s_addc_u32 s3, s19, s5
	v_mul_u32_u24_e32 v1, 0x55, v1
	v_sub_nc_u32_e32 v98, v0, v1
	s_waitcnt lgkmcnt(0)
	v_cmp_gt_u64_e32 vcc_lo, s[0:1], v[100:101]
	v_cmp_gt_u32_e64 s0, 0x4b, v98
	s_and_b32 s1, vcc_lo, s0
	s_and_saveexec_b32 s6, s1
	s_cbranch_execz .LBB0_10
; %bb.9:
	s_add_u32 s4, s16, s4
	s_addc_u32 s5, s17, s5
	v_mov_b32_e32 v99, 0
	s_load_dwordx2 s[4:5], s[4:5], 0x0
	s_waitcnt lgkmcnt(0)
	v_mul_lo_u32 v2, s5, v100
	v_mul_lo_u32 v3, s4, v101
	v_mad_u64_u32 v[0:1], null, s4, v100, 0
	v_add3_u32 v1, v1, v3, v2
	v_lshlrev_b64 v[2:3], 4, v[4:5]
	v_lshlrev_b64 v[0:1], 4, v[0:1]
	v_add_co_u32 v4, s1, s8, v0
	v_add_co_ci_u32_e64 v5, s1, s9, v1, s1
	v_lshlrev_b64 v[0:1], 4, v[98:99]
	v_add_co_u32 v2, s1, v4, v2
	v_add_co_ci_u32_e64 v3, s1, v5, v3, s1
	v_add_co_u32 v12, s1, v2, v0
	v_add_co_ci_u32_e64 v13, s1, v3, v1, s1
	s_clause 0x1
	global_load_dwordx4 v[0:3], v[12:13], off
	global_load_dwordx4 v[4:7], v[12:13], off offset:1200
	v_add_co_u32 v14, s1, 0x800, v12
	v_add_co_ci_u32_e64 v15, s1, 0, v13, s1
	v_add_co_u32 v24, s1, 0x1000, v12
	v_add_co_ci_u32_e64 v25, s1, 0, v13, s1
	;; [unrolled: 2-line block ×6, first 2 shown]
	s_clause 0x9
	global_load_dwordx4 v[8:11], v[14:15], off offset:352
	global_load_dwordx4 v[16:19], v[14:15], off offset:1552
	;; [unrolled: 1-line block ×10, first 2 shown]
	v_add_co_u32 v14, s1, 0x3800, v12
	v_add_co_ci_u32_e64 v15, s1, 0, v13, s1
	v_add_co_u32 v52, s1, 0x4000, v12
	v_add_co_ci_u32_e64 v53, s1, 0, v13, s1
	;; [unrolled: 2-line block ×3, first 2 shown]
	s_clause 0x4
	global_load_dwordx4 v[64:67], v[14:15], off offset:64
	global_load_dwordx4 v[60:63], v[14:15], off offset:1264
	;; [unrolled: 1-line block ×5, first 2 shown]
.LBB0_10:
	s_or_b32 exec_lo, exec_lo, s6
	v_mul_hi_u32 v69, 0xaaaaaaab, v68
	v_lshrrev_b32_e32 v69, 1, v69
	v_lshl_add_u32 v69, v69, 1, v69
	v_sub_nc_u32_e32 v68, v68, v69
	v_mul_u32_u24_e32 v68, 0x4fb, v68
	v_lshlrev_b32_e32 v99, 3, v68
	s_and_saveexec_b32 s1, s0
	s_cbranch_execz .LBB0_12
; %bb.11:
	s_waitcnt vmcnt(0)
	v_add_f64 v[68:69], v[6:7], -v[14:15]
	s_mov_b32 s8, 0x7c9e640b
	s_mov_b32 s9, 0x3feca52d
	;; [unrolled: 1-line block ×4, first 2 shown]
	v_add_f64 v[70:71], v[12:13], v[4:5]
	v_add_f64 v[76:77], v[10:11], -v[54:55]
	s_mov_b32 s6, 0x2b2883cd
	s_mov_b32 s14, 0x6c9a05f6
	;; [unrolled: 1-line block ×8, first 2 shown]
	v_add_f64 v[72:73], v[52:53], v[8:9]
	s_mov_b32 s4, 0x6ed5f1bb
	s_mov_b32 s22, 0xeb564b22
	;; [unrolled: 1-line block ×6, first 2 shown]
	v_mul_f64 v[74:75], v[68:69], s[18:19]
	v_mul_f64 v[80:81], v[68:69], s[34:35]
	s_mov_b32 s23, 0x3fefdd0d
	s_mov_b32 s21, 0x3fe7a5f6
	;; [unrolled: 1-line block ×4, first 2 shown]
	v_mul_f64 v[94:95], v[76:77], s[14:15]
	s_mov_b32 s30, s22
	s_mov_b32 s37, 0xbfe0d888
	v_add_f64 v[82:83], v[18:19], -v[58:59]
	v_mul_f64 v[84:85], v[68:69], s[28:29]
	v_mul_f64 v[86:87], v[68:69], s[30:31]
	;; [unrolled: 1-line block ×5, first 2 shown]
	v_add_f64 v[132:133], v[4:5], v[0:1]
	s_mov_b32 s16, 0x3259b75e
	s_mov_b32 s24, 0xacd6c6b4
	s_mov_b32 s38, 0xc61f0d01
	s_mov_b32 s40, 0x910ea3b9
	s_mov_b32 s17, 0x3fb79ee6
	s_mov_b32 s25, 0xbfc7851a
	v_fma_f64 v[112:113], v[70:71], s[6:7], -v[74:75]
	v_fma_f64 v[114:115], v[70:71], s[20:21], -v[80:81]
	s_mov_b32 s47, 0x3fc7851a
	s_mov_b32 s39, 0xbfd183b1
	;; [unrolled: 1-line block ×4, first 2 shown]
	v_fma_f64 v[126:127], v[72:73], s[4:5], -v[94:95]
	s_mov_b32 s41, 0xbfeb34fa
	s_mov_b32 s46, s24
	;; [unrolled: 1-line block ×4, first 2 shown]
	v_add_f64 v[78:79], v[56:57], v[16:17]
	v_mul_f64 v[104:105], v[76:77], s[44:45]
	v_fma_f64 v[116:117], v[70:71], s[38:39], -v[84:85]
	v_mul_f64 v[90:91], v[82:83], s[46:47]
	v_mul_f64 v[106:107], v[76:77], s[24:25]
	;; [unrolled: 1-line block ×3, first 2 shown]
	v_fma_f64 v[120:121], v[70:71], s[16:17], -v[86:87]
	v_fma_f64 v[122:123], v[70:71], s[40:41], -v[108:109]
	v_mul_f64 v[124:125], v[76:77], s[42:43]
	v_fma_f64 v[128:129], v[70:71], s[4:5], -v[110:111]
	v_fma_f64 v[130:131], v[72:73], s[16:17], -v[102:103]
	v_add_f64 v[112:113], v[0:1], v[112:113]
	v_add_f64 v[114:115], v[0:1], v[114:115]
	s_mov_b32 s46, 0x7faef3
	s_mov_b32 s50, 0x5d8e7cdc
	s_mov_b32 s47, 0xbfef7484
	s_mov_b32 s51, 0x3fd71e95
	s_mov_b32 s53, 0xbfd71e95
	s_mov_b32 s52, s50
	v_add_f64 v[92:93], v[22:23], -v[62:63]
	v_mul_f64 v[136:137], v[82:83], s[26:27]
	v_mul_f64 v[142:143], v[82:83], s[42:43]
	;; [unrolled: 1-line block ×3, first 2 shown]
	v_fma_f64 v[138:139], v[72:73], s[40:41], -v[104:105]
	v_add_f64 v[116:117], v[0:1], v[116:117]
	v_fma_f64 v[148:149], v[78:79], s[46:47], -v[90:91]
	v_fma_f64 v[144:145], v[72:73], s[46:47], -v[106:107]
	;; [unrolled: 1-line block ×3, first 2 shown]
	v_add_f64 v[120:121], v[0:1], v[120:121]
	v_add_f64 v[122:123], v[0:1], v[122:123]
	v_fma_f64 v[154:155], v[72:73], s[38:39], -v[124:125]
	v_add_f64 v[128:129], v[0:1], v[128:129]
	v_mul_f64 v[88:89], v[82:83], s[14:15]
	v_add_f64 v[112:113], v[126:127], v[112:113]
	v_add_f64 v[126:127], v[8:9], v[132:133]
	;; [unrolled: 1-line block ×3, first 2 shown]
	v_mul_f64 v[130:131], v[82:83], s[52:53]
	s_mov_b32 s48, 0x370991
	s_mov_b32 s55, 0x3fe9895b
	;; [unrolled: 1-line block ×4, first 2 shown]
	v_add_f64 v[134:135], v[60:61], v[20:21]
	v_add_f64 v[132:133], v[30:31], -v[66:67]
	v_mul_f64 v[160:161], v[92:93], s[18:19]
	v_fma_f64 v[162:163], v[78:79], s[20:21], -v[136:137]
	v_fma_f64 v[164:165], v[78:79], s[38:39], -v[142:143]
	v_add_f64 v[116:117], v[138:139], v[116:117]
	v_mul_f64 v[138:139], v[92:93], s[50:51]
	v_mul_f64 v[140:141], v[92:93], s[42:43]
	v_mul_f64 v[156:157], v[92:93], s[24:25]
	v_add_f64 v[120:121], v[144:145], v[120:121]
	v_add_f64 v[122:123], v[146:147], v[122:123]
	v_mul_f64 v[144:145], v[92:93], s[54:55]
	v_fma_f64 v[146:147], v[78:79], s[16:17], -v[150:151]
	v_add_f64 v[128:129], v[154:155], v[128:129]
	v_add_f64 v[112:113], v[148:149], v[112:113]
	v_add_f64 v[126:127], v[16:17], v[126:127]
	v_mul_f64 v[148:149], v[92:93], s[36:37]
	v_fma_f64 v[154:155], v[78:79], s[48:49], -v[130:131]
	v_fma_f64 v[152:153], v[78:79], s[4:5], -v[88:89]
	v_add_f64 v[158:159], v[64:65], v[28:29]
	v_add_f64 v[174:175], v[38:39], -v[26:27]
	v_mul_f64 v[172:173], v[68:69], s[24:25]
	v_add_f64 v[186:187], v[24:25], v[36:37]
	v_mul_f64 v[180:181], v[132:133], s[52:53]
	v_fma_f64 v[176:177], v[134:135], s[6:7], -v[160:161]
	v_mul_f64 v[168:169], v[132:133], s[26:27]
	v_mul_f64 v[182:183], v[76:77], s[50:51]
	v_add_f64 v[116:117], v[162:163], v[116:117]
	v_fma_f64 v[162:163], v[134:135], s[48:49], -v[138:139]
	v_fma_f64 v[166:167], v[134:135], s[38:39], -v[140:141]
	;; [unrolled: 1-line block ×3, first 2 shown]
	v_add_f64 v[120:121], v[164:165], v[120:121]
	v_mul_f64 v[188:189], v[132:133], s[22:23]
	v_fma_f64 v[164:165], v[134:135], s[4:5], -v[144:145]
	v_add_f64 v[122:123], v[146:147], v[122:123]
	v_mul_f64 v[146:147], v[132:133], s[18:19]
	v_add_f64 v[206:207], v[32:33], v[40:41]
	v_add_f64 v[126:127], v[20:21], v[126:127]
	v_fma_f64 v[184:185], v[134:135], s[40:41], -v[148:149]
	v_add_f64 v[128:129], v[154:155], v[128:129]
	v_add_f64 v[114:115], v[152:153], v[114:115]
	v_mul_f64 v[152:153], v[132:133], s[44:45]
	v_mul_f64 v[198:199], v[174:175], s[36:37]
	;; [unrolled: 1-line block ×3, first 2 shown]
	v_fma_f64 v[108:109], v[70:71], s[40:41], v[108:109]
	v_fma_f64 v[196:197], v[158:159], s[48:49], -v[180:181]
	v_mul_f64 v[190:191], v[174:175], s[52:53]
	v_fma_f64 v[154:155], v[158:159], s[20:21], -v[168:169]
	v_mul_f64 v[202:203], v[82:83], s[36:37]
	v_add_f64 v[116:117], v[176:177], v[116:117]
	v_add_f64 v[176:177], v[42:43], -v[34:35]
	v_add_f64 v[112:113], v[166:167], v[112:113]
	v_fma_f64 v[110:111], v[70:71], s[4:5], v[110:111]
	v_add_f64 v[120:121], v[162:163], v[120:121]
	v_mul_f64 v[76:77], v[76:77], s[34:35]
	v_fma_f64 v[84:85], v[70:71], s[38:39], v[84:85]
	v_add_f64 v[122:123], v[164:165], v[122:123]
	v_fma_f64 v[164:165], v[158:159], s[6:7], -v[146:147]
	v_fma_f64 v[118:119], v[72:73], s[6:7], v[118:119]
	v_add_f64 v[126:127], v[28:29], v[126:127]
	v_mul_f64 v[204:205], v[174:175], s[34:35]
	v_add_f64 v[128:129], v[184:185], v[128:129]
	v_mul_f64 v[184:185], v[174:175], s[24:25]
	v_fma_f64 v[166:167], v[158:159], s[40:41], -v[152:153]
	v_add_f64 v[114:115], v[170:171], v[114:115]
	v_fma_f64 v[170:171], v[70:71], s[46:47], v[172:173]
	v_fma_f64 v[212:213], v[186:187], s[40:41], -v[198:199]
	v_add_f64 v[108:109], v[0:1], v[108:109]
	v_fma_f64 v[200:201], v[186:187], s[48:49], -v[190:191]
	v_fma_f64 v[86:87], v[70:71], s[16:17], v[86:87]
	v_fma_f64 v[74:75], v[70:71], s[6:7], v[74:75]
	;; [unrolled: 1-line block ×3, first 2 shown]
	v_mul_f64 v[214:215], v[176:177], s[54:55]
	v_add_f64 v[112:113], v[154:155], v[112:113]
	v_fma_f64 v[154:155], v[70:71], s[46:47], -v[172:173]
	v_fma_f64 v[172:173], v[72:73], s[48:49], v[182:183]
	v_fma_f64 v[182:183], v[72:73], s[48:49], -v[182:183]
	v_fma_f64 v[124:125], v[72:73], s[38:39], v[124:125]
	v_add_f64 v[122:123], v[196:197], v[122:123]
	v_add_f64 v[120:121], v[164:165], v[120:121]
	;; [unrolled: 1-line block ×4, first 2 shown]
	v_mul_f64 v[82:83], v[82:83], s[18:19]
	v_fma_f64 v[104:105], v[72:73], s[40:41], v[104:105]
	v_fma_f64 v[216:217], v[186:187], s[46:47], -v[184:185]
	v_add_f64 v[84:85], v[0:1], v[84:85]
	v_add_f64 v[114:115], v[166:167], v[114:115]
	;; [unrolled: 1-line block ×3, first 2 shown]
	v_fma_f64 v[166:167], v[158:159], s[16:17], -v[188:189]
	v_add_f64 v[108:109], v[118:119], v[108:109]
	v_fma_f64 v[106:107], v[72:73], s[46:47], v[106:107]
	v_add_f64 v[86:87], v[0:1], v[86:87]
	v_fma_f64 v[94:95], v[72:73], s[4:5], v[94:95]
	;; [unrolled: 2-line block ×3, first 2 shown]
	v_add_f64 v[112:113], v[200:201], v[112:113]
	v_add_f64 v[154:155], v[0:1], v[154:155]
	v_fma_f64 v[200:201], v[186:187], s[20:21], -v[204:205]
	v_add_f64 v[80:81], v[0:1], v[80:81]
	v_mul_f64 v[178:179], v[132:133], s[24:25]
	v_fma_f64 v[90:91], v[78:79], s[46:47], v[90:91]
	v_add_f64 v[120:121], v[212:213], v[120:121]
	v_fma_f64 v[212:213], v[206:207], s[4:5], -v[214:215]
	v_add_f64 v[126:127], v[40:41], v[126:127]
	v_add_f64 v[110:111], v[124:125], v[110:111]
	v_fma_f64 v[124:125], v[78:79], s[48:49], v[130:131]
	v_add_f64 v[122:123], v[216:217], v[122:123]
	v_fma_f64 v[216:217], v[70:71], s[48:49], -v[68:69]
	v_fma_f64 v[68:69], v[70:71], s[48:49], v[68:69]
	v_add_f64 v[170:171], v[172:173], v[170:171]
	v_add_f64 v[128:129], v[166:167], v[128:129]
	v_fma_f64 v[166:167], v[78:79], s[40:41], v[202:203]
	v_mul_f64 v[172:173], v[92:93], s[26:27]
	v_fma_f64 v[202:203], v[78:79], s[40:41], -v[202:203]
	v_mul_f64 v[92:93], v[92:93], s[30:31]
	v_add_f64 v[84:85], v[104:105], v[84:85]
	v_fma_f64 v[104:105], v[78:79], s[20:21], v[136:137]
	v_add_f64 v[86:87], v[106:107], v[86:87]
	v_add_f64 v[154:155], v[182:183], v[154:155]
	v_fma_f64 v[106:107], v[78:79], s[38:39], v[142:143]
	v_add_f64 v[74:75], v[94:95], v[74:75]
	v_add_f64 v[80:81], v[102:103], v[80:81]
	v_fma_f64 v[88:89], v[78:79], s[4:5], v[88:89]
	v_fma_f64 v[192:193], v[158:159], s[46:47], -v[178:179]
	v_add_f64 v[120:121], v[212:213], v[120:121]
	v_add_f64 v[126:127], v[48:49], v[126:127]
	v_mul_f64 v[162:163], v[174:175], s[42:43]
	v_mul_f64 v[194:195], v[174:175], s[22:23]
	v_fma_f64 v[102:103], v[134:135], s[4:5], v[144:145]
	v_add_f64 v[212:213], v[0:1], v[216:217]
	v_fma_f64 v[216:217], v[72:73], s[20:21], -v[76:77]
	v_fma_f64 v[72:73], v[72:73], s[20:21], v[76:77]
	v_add_f64 v[0:1], v[0:1], v[68:69]
	v_add_f64 v[166:167], v[166:167], v[170:171]
	v_fma_f64 v[170:171], v[134:135], s[20:21], v[172:173]
	v_fma_f64 v[76:77], v[78:79], s[6:7], -v[82:83]
	v_add_f64 v[128:129], v[200:201], v[128:129]
	v_mul_f64 v[200:201], v[132:133], s[14:15]
	v_add_f64 v[84:85], v[104:105], v[84:85]
	v_fma_f64 v[104:105], v[134:135], s[6:7], v[160:161]
	v_add_f64 v[154:155], v[202:203], v[154:155]
	v_add_f64 v[86:87], v[106:107], v[86:87]
	v_fma_f64 v[106:107], v[134:135], s[48:49], v[138:139]
	v_add_f64 v[74:75], v[90:91], v[74:75]
	v_fma_f64 v[90:91], v[134:135], s[38:39], v[140:141]
	;; [unrolled: 2-line block ×4, first 2 shown]
	v_fma_f64 v[78:79], v[78:79], s[6:7], v[82:83]
	v_add_f64 v[116:117], v[192:193], v[116:117]
	v_fma_f64 v[192:193], v[186:187], s[38:39], -v[162:163]
	v_add_f64 v[130:131], v[216:217], v[212:213]
	v_mul_f64 v[210:211], v[176:177], s[8:9]
	v_add_f64 v[0:1], v[72:73], v[0:1]
	v_fma_f64 v[164:165], v[186:187], s[16:17], -v[194:195]
	v_add_f64 v[70:71], v[170:171], v[166:167]
	v_fma_f64 v[170:171], v[134:135], s[20:21], -v[172:173]
	v_mul_f64 v[196:197], v[176:177], s[52:53]
	v_fma_f64 v[142:143], v[158:159], s[4:5], -v[200:201]
	v_fma_f64 v[166:167], v[158:159], s[4:5], v[200:201]
	v_add_f64 v[84:85], v[104:105], v[84:85]
	v_mul_f64 v[140:141], v[174:175], s[14:15]
	v_fma_f64 v[144:145], v[158:159], s[6:7], v[146:147]
	v_add_f64 v[86:87], v[106:107], v[86:87]
	v_fma_f64 v[146:147], v[158:159], s[20:21], v[168:169]
	v_add_f64 v[74:75], v[90:91], v[74:75]
	v_mul_f64 v[208:209], v[176:177], s[30:31]
	v_add_f64 v[80:81], v[88:89], v[80:81]
	v_add_f64 v[118:119], v[32:33], v[118:119]
	;; [unrolled: 1-line block ×4, first 2 shown]
	v_fma_f64 v[110:111], v[134:135], s[40:41], v[148:149]
	v_fma_f64 v[124:125], v[134:135], s[16:17], -v[92:93]
	v_add_f64 v[76:77], v[76:77], v[130:131]
	v_mul_f64 v[130:131], v[132:133], s[28:29]
	v_fma_f64 v[92:93], v[134:135], s[16:17], v[92:93]
	v_add_f64 v[0:1], v[78:79], v[0:1]
	v_fma_f64 v[134:135], v[158:159], s[16:17], v[188:189]
	v_add_f64 v[136:137], v[170:171], v[154:155]
	v_fma_f64 v[88:89], v[158:159], s[40:41], v[152:153]
	v_add_f64 v[68:69], v[50:51], -v[46:47]
	v_add_f64 v[114:115], v[192:193], v[114:115]
	v_fma_f64 v[192:193], v[206:207], s[6:7], -v[210:211]
	v_add_f64 v[116:117], v[164:165], v[116:117]
	v_fma_f64 v[164:165], v[206:207], s[48:49], -v[196:197]
	v_mul_f64 v[220:221], v[176:177], s[26:27]
	v_mul_f64 v[182:183], v[176:177], s[24:25]
	v_add_f64 v[70:71], v[166:167], v[70:71]
	v_mul_f64 v[150:151], v[176:177], s[28:29]
	v_fma_f64 v[152:153], v[186:187], s[46:47], v[184:185]
	v_add_f64 v[118:119], v[24:25], v[118:119]
	v_add_f64 v[94:95], v[102:103], v[94:95]
	v_mul_f64 v[102:103], v[174:175], s[8:9]
	v_add_f64 v[108:109], v[110:111], v[108:109]
	v_fma_f64 v[110:111], v[158:159], s[48:49], v[180:181]
	v_add_f64 v[76:77], v[124:125], v[76:77]
	v_fma_f64 v[104:105], v[158:159], s[38:39], -v[130:131]
	v_fma_f64 v[130:131], v[158:159], s[38:39], v[130:131]
	v_add_f64 v[0:1], v[92:93], v[0:1]
	v_mul_f64 v[154:155], v[176:177], s[36:37]
	v_add_f64 v[136:137], v[142:143], v[136:137]
	v_fma_f64 v[142:143], v[158:159], s[46:47], v[178:179]
	v_add_f64 v[86:87], v[144:145], v[86:87]
	v_fma_f64 v[144:145], v[186:187], s[40:41], v[198:199]
	;; [unrolled: 2-line block ×4, first 2 shown]
	v_fma_f64 v[218:219], v[206:207], s[16:17], -v[208:209]
	v_add_f64 v[82:83], v[44:45], v[48:49]
	v_mul_f64 v[72:73], v[68:69], s[36:37]
	v_mul_f64 v[126:127], v[68:69], s[50:51]
	v_add_f64 v[118:119], v[64:65], v[118:119]
	v_mul_f64 v[132:133], v[68:69], s[14:15]
	v_fma_f64 v[148:149], v[186:187], s[6:7], v[102:103]
	v_fma_f64 v[102:103], v[186:187], s[6:7], -v[102:103]
	v_add_f64 v[94:95], v[110:111], v[94:95]
	v_add_f64 v[108:109], v[134:135], v[108:109]
	v_fma_f64 v[134:135], v[186:187], s[20:21], v[204:205]
	v_add_f64 v[76:77], v[104:105], v[76:77]
	v_fma_f64 v[104:105], v[186:187], s[4:5], -v[140:141]
	v_fma_f64 v[140:141], v[186:187], s[4:5], v[140:141]
	v_add_f64 v[0:1], v[130:131], v[0:1]
	v_add_f64 v[84:85], v[142:143], v[84:85]
	v_fma_f64 v[142:143], v[186:187], s[16:17], v[194:195]
	v_mul_f64 v[138:139], v[68:69], s[26:27]
	v_add_f64 v[114:115], v[192:193], v[114:115]
	v_add_f64 v[116:117], v[164:165], v[116:117]
	v_fma_f64 v[164:165], v[206:207], s[20:21], -v[220:221]
	v_fma_f64 v[192:193], v[206:207], s[46:47], -v[182:183]
	v_mul_f64 v[92:93], v[68:69], s[28:29]
	v_mul_f64 v[110:111], v[68:69], s[8:9]
	v_mul_f64 v[130:131], v[68:69], s[22:23]
	v_mul_f64 v[68:69], v[68:69], s[24:25]
	v_add_f64 v[118:119], v[60:61], v[118:119]
	v_add_f64 v[86:87], v[144:145], v[86:87]
	;; [unrolled: 1-line block ×3, first 2 shown]
	v_fma_f64 v[148:149], v[206:207], s[38:39], v[150:151]
	v_add_f64 v[102:103], v[102:103], v[136:137]
	v_fma_f64 v[136:137], v[206:207], s[38:39], -v[150:151]
	v_add_f64 v[94:95], v[152:153], v[94:95]
	v_fma_f64 v[150:151], v[206:207], s[20:21], v[220:221]
	v_add_f64 v[108:109], v[134:135], v[108:109]
	v_fma_f64 v[134:135], v[206:207], s[46:47], v[182:183]
	v_add_f64 v[76:77], v[104:105], v[76:77]
	v_fma_f64 v[104:105], v[206:207], s[40:41], -v[154:155]
	v_add_f64 v[84:85], v[142:143], v[84:85]
	v_fma_f64 v[142:143], v[206:207], s[48:49], v[196:197]
	v_fma_f64 v[144:145], v[206:207], s[4:5], v[214:215]
	v_add_f64 v[74:75], v[146:147], v[74:75]
	v_fma_f64 v[146:147], v[206:207], s[16:17], v[208:209]
	v_add_f64 v[80:81], v[88:89], v[80:81]
	v_fma_f64 v[88:89], v[206:207], s[6:7], v[210:211]
	v_fma_f64 v[154:155], v[206:207], s[40:41], v[154:155]
	v_add_f64 v[0:1], v[140:141], v[0:1]
	v_add_f64 v[112:113], v[218:219], v[112:113]
	;; [unrolled: 1-line block ×3, first 2 shown]
	v_fma_f64 v[78:79], v[82:83], s[40:41], -v[72:73]
	v_fma_f64 v[124:125], v[82:83], s[48:49], -v[126:127]
	;; [unrolled: 1-line block ×4, first 2 shown]
	v_add_f64 v[122:123], v[164:165], v[122:123]
	v_add_f64 v[128:129], v[192:193], v[128:129]
	v_fma_f64 v[152:153], v[82:83], s[38:39], -v[92:93]
	v_fma_f64 v[140:141], v[82:83], s[6:7], -v[110:111]
	v_add_f64 v[70:71], v[148:149], v[70:71]
	v_fma_f64 v[148:149], v[82:83], s[16:17], v[130:131]
	v_add_f64 v[102:103], v[136:137], v[102:103]
	v_fma_f64 v[130:131], v[82:83], s[16:17], -v[130:131]
	v_add_f64 v[94:95], v[150:151], v[94:95]
	v_fma_f64 v[92:93], v[82:83], s[38:39], v[92:93]
	v_add_f64 v[108:109], v[134:135], v[108:109]
	v_fma_f64 v[110:111], v[82:83], s[6:7], v[110:111]
	v_add_f64 v[76:77], v[104:105], v[76:77]
	v_fma_f64 v[104:105], v[82:83], s[46:47], -v[68:69]
	v_add_f64 v[84:85], v[142:143], v[84:85]
	v_fma_f64 v[132:133], v[82:83], s[4:5], v[132:133]
	v_add_f64 v[86:87], v[144:145], v[86:87]
	v_add_f64 v[118:119], v[52:53], v[118:119]
	v_fma_f64 v[134:135], v[82:83], s[20:21], v[138:139]
	v_add_f64 v[74:75], v[146:147], v[74:75]
	v_fma_f64 v[72:73], v[82:83], s[40:41], v[72:73]
	;; [unrolled: 2-line block ×3, first 2 shown]
	v_fma_f64 v[68:69], v[82:83], s[46:47], v[68:69]
	v_add_f64 v[0:1], v[154:155], v[0:1]
	v_add_f64 v[78:79], v[78:79], v[112:113]
	;; [unrolled: 1-line block ×18, first 2 shown]
	v_mul_u32_u24_e32 v68, 0x88, v98
	v_add3_u32 v68, 0, v68, v99
	ds_write2_b64 v68, v[82:83], v[78:79] offset0:2 offset1:3
	ds_write2_b64 v68, v[90:91], v[106:107] offset0:4 offset1:5
	;; [unrolled: 1-line block ×5, first 2 shown]
	ds_write2_b64 v68, v[104:105], v[76:77] offset1:1
	ds_write2_b64 v68, v[84:85], v[86:87] offset0:12 offset1:13
	ds_write2_b64 v68, v[72:73], v[74:75] offset0:14 offset1:15
	ds_write_b64 v68, v[0:1] offset:128
.LBB0_12:
	s_or_b32 exec_lo, exec_lo, s1
	s_waitcnt vmcnt(16)
	v_lshlrev_b32_e32 v0, 3, v98
	s_waitcnt vmcnt(0) lgkmcnt(0)
	s_barrier
	buffer_gl0_inv
	v_add_nc_u32_e32 v112, 0, v0
	v_add3_u32 v104, 0, v99, v0
	v_add_nc_u32_e32 v105, v112, v99
	ds_read_b64 v[0:1], v104
	v_add_nc_u32_e32 v106, 0x800, v105
	v_add_nc_u32_e32 v107, 0x1400, v105
	;; [unrolled: 1-line block ×5, first 2 shown]
	ds_read2_b64 v[68:71], v105 offset0:85 offset1:170
	v_add_nc_u32_e32 v110, 0x2000, v105
	ds_read2_b64 v[88:91], v106 offset0:169 offset1:254
	ds_read2_b64 v[76:79], v107 offset0:125 offset1:210
	;; [unrolled: 1-line block ×6, first 2 shown]
	s_waitcnt lgkmcnt(0)
	s_barrier
	buffer_gl0_inv
	s_and_saveexec_b32 s33, s0
	s_cbranch_execz .LBB0_14
; %bb.13:
	v_add_f64 v[102:103], v[6:7], v[2:3]
	v_add_f64 v[4:5], v[4:5], -v[12:13]
	s_mov_b32 s34, 0x5d8e7cdc
	s_mov_b32 s44, 0x2a9d6da3
	;; [unrolled: 1-line block ×16, first 2 shown]
	v_add_f64 v[44:45], v[48:49], -v[44:45]
	v_add_f64 v[32:33], v[40:41], -v[32:33]
	;; [unrolled: 1-line block ×3, first 2 shown]
	v_add_f64 v[6:7], v[14:15], v[6:7]
	v_add_f64 v[102:103], v[10:11], v[102:103]
	v_mul_f64 v[36:37], v[4:5], s[46:47]
	v_add_f64 v[8:9], v[8:9], -v[52:53]
	v_mul_f64 v[40:41], v[4:5], s[38:39]
	v_mul_f64 v[48:49], v[4:5], s[26:27]
	;; [unrolled: 1-line block ×3, first 2 shown]
	s_mov_b32 s14, 0x370991
	s_mov_b32 s8, 0x75d4884
	;; [unrolled: 1-line block ×16, first 2 shown]
	v_add_f64 v[102:103], v[18:19], v[102:103]
	v_add_f64 v[28:29], v[28:29], -v[64:65]
	v_add_f64 v[20:21], v[20:21], -v[60:61]
	v_add_f64 v[18:19], v[58:59], v[18:19]
	v_add_f64 v[16:17], v[16:17], -v[56:57]
	v_add_f64 v[10:11], v[54:55], v[10:11]
	v_fma_f64 v[60:61], v[6:7], s[0:1], v[40:41]
	v_fma_f64 v[40:41], v[6:7], s[0:1], -v[40:41]
	v_fma_f64 v[64:65], v[6:7], s[18:19], v[48:49]
	v_fma_f64 v[48:49], v[6:7], s[18:19], -v[48:49]
	s_mov_b32 s51, 0x3fe0d888
	s_mov_b32 s49, 0x3feec746
	;; [unrolled: 1-line block ×6, first 2 shown]
	v_mul_f64 v[113:114], v[8:9], s[24:25]
	v_mul_f64 v[115:116], v[8:9], s[50:51]
	;; [unrolled: 1-line block ×4, first 2 shown]
	s_mov_b32 s37, 0x3fd71e95
	s_mov_b32 s36, s34
	v_add_f64 v[102:103], v[22:23], v[102:103]
	v_add_f64 v[22:23], v[62:63], v[22:23]
	s_mov_b32 s43, 0x3fc7851a
	s_mov_b32 s41, 0x3fe58eea
	;; [unrolled: 1-line block ×5, first 2 shown]
	v_add_f64 v[40:41], v[2:3], v[40:41]
	s_mov_b32 s52, s26
	v_add_f64 v[48:49], v[2:3], v[48:49]
	v_fma_f64 v[127:128], v[10:11], s[4:5], v[113:114]
	v_fma_f64 v[113:114], v[10:11], s[4:5], -v[113:114]
	v_fma_f64 v[129:130], v[10:11], s[22:23], v[115:116]
	v_fma_f64 v[115:116], v[10:11], s[22:23], -v[115:116]
	v_fma_f64 v[131:132], v[10:11], s[16:17], v[117:118]
	v_fma_f64 v[117:118], v[10:11], s[16:17], -v[117:118]
	v_add_f64 v[102:103], v[30:31], v[102:103]
	v_add_f64 v[30:31], v[66:67], v[30:31]
	v_fma_f64 v[133:134], v[10:11], s[6:7], v[119:120]
	v_fma_f64 v[119:120], v[10:11], s[6:7], -v[119:120]
	v_add_f64 v[40:41], v[113:114], v[40:41]
	v_mul_f64 v[113:114], v[16:17], s[40:41]
	v_add_f64 v[48:49], v[117:118], v[48:49]
	v_add_f64 v[102:103], v[38:39], v[102:103]
	;; [unrolled: 1-line block ×3, first 2 shown]
	v_mul_f64 v[117:118], v[16:17], s[38:39]
	v_add_f64 v[102:103], v[42:43], v[102:103]
	v_add_f64 v[42:43], v[34:35], v[42:43]
	;; [unrolled: 1-line block ×6, first 2 shown]
	v_mul_f64 v[46:47], v[4:5], s[20:21]
	v_add_f64 v[26:27], v[26:27], v[34:35]
	v_mul_f64 v[34:35], v[4:5], s[44:45]
	v_add_f64 v[26:27], v[66:67], v[26:27]
	v_fma_f64 v[56:57], v[6:7], s[8:9], v[34:35]
	v_fma_f64 v[34:35], v[6:7], s[8:9], -v[34:35]
	v_fma_f64 v[66:67], v[6:7], s[22:23], v[52:53]
	v_fma_f64 v[52:53], v[6:7], s[22:23], -v[52:53]
	v_add_f64 v[26:27], v[62:63], v[26:27]
	v_fma_f64 v[62:63], v[6:7], s[16:17], v[46:47]
	v_fma_f64 v[46:47], v[6:7], s[16:17], -v[46:47]
	v_add_f64 v[34:35], v[2:3], v[34:35]
	v_add_f64 v[52:53], v[2:3], v[52:53]
	;; [unrolled: 1-line block ×3, first 2 shown]
	v_mul_f64 v[26:27], v[4:5], s[34:35]
	v_mul_f64 v[4:5], v[4:5], s[24:25]
	v_fma_f64 v[58:59], v[6:7], s[6:7], v[36:37]
	v_fma_f64 v[36:37], v[6:7], s[6:7], -v[36:37]
	v_add_f64 v[46:47], v[2:3], v[46:47]
	v_add_f64 v[52:53], v[119:120], v[52:53]
	;; [unrolled: 1-line block ×3, first 2 shown]
	v_fma_f64 v[54:55], v[6:7], s[14:15], v[26:27]
	v_fma_f64 v[26:27], v[6:7], s[14:15], -v[26:27]
	v_fma_f64 v[102:103], v[6:7], s[4:5], v[4:5]
	v_fma_f64 v[4:5], v[6:7], s[4:5], -v[4:5]
	v_add_f64 v[36:37], v[2:3], v[36:37]
	v_add_f64 v[46:47], v[115:116], v[46:47]
	v_mul_f64 v[115:116], v[16:17], s[34:35]
	v_add_f64 v[6:7], v[2:3], v[54:55]
	v_add_f64 v[26:27], v[2:3], v[26:27]
	v_add_f64 v[54:55], v[2:3], v[56:57]
	v_add_f64 v[56:57], v[2:3], v[58:59]
	v_add_f64 v[58:59], v[2:3], v[60:61]
	v_add_f64 v[60:61], v[2:3], v[62:63]
	v_add_f64 v[62:63], v[2:3], v[64:65]
	v_add_f64 v[64:65], v[2:3], v[66:67]
	v_add_f64 v[66:67], v[2:3], v[102:103]
	v_add_f64 v[2:3], v[2:3], v[4:5]
	v_add_f64 v[4:5], v[14:15], v[12:13]
	v_mul_f64 v[12:13], v[8:9], s[44:45]
	v_mul_f64 v[14:15], v[8:9], s[38:39]
	;; [unrolled: 1-line block ×4, first 2 shown]
	v_fma_f64 v[121:122], v[10:11], s[8:9], v[12:13]
	v_fma_f64 v[12:13], v[10:11], s[8:9], -v[12:13]
	v_fma_f64 v[123:124], v[10:11], s[0:1], v[14:15]
	v_fma_f64 v[14:15], v[10:11], s[0:1], -v[14:15]
	;; [unrolled: 2-line block ×4, first 2 shown]
	v_add_f64 v[6:7], v[121:122], v[6:7]
	v_add_f64 v[10:11], v[12:13], v[26:27]
	;; [unrolled: 1-line block ×10, first 2 shown]
	v_mul_f64 v[60:61], v[16:17], s[46:47]
	v_mul_f64 v[62:63], v[16:17], s[26:27]
	;; [unrolled: 1-line block ×5, first 2 shown]
	v_fma_f64 v[127:128], v[18:19], s[8:9], v[113:114]
	v_fma_f64 v[113:114], v[18:19], s[8:9], -v[113:114]
	v_fma_f64 v[129:130], v[18:19], s[14:15], v[115:116]
	v_fma_f64 v[131:132], v[18:19], s[0:1], v[117:118]
	v_fma_f64 v[115:116], v[18:19], s[14:15], -v[115:116]
	v_fma_f64 v[117:118], v[18:19], s[0:1], -v[117:118]
	v_add_f64 v[2:3], v[8:9], v[2:3]
	s_mov_b32 s43, 0x3fefdd0d
	s_mov_b32 s42, s38
	v_fma_f64 v[119:120], v[18:19], s[6:7], v[60:61]
	v_fma_f64 v[60:61], v[18:19], s[6:7], -v[60:61]
	v_fma_f64 v[121:122], v[18:19], s[18:19], v[62:63]
	v_fma_f64 v[62:63], v[18:19], s[18:19], -v[62:63]
	;; [unrolled: 2-line block ×5, first 2 shown]
	v_add_f64 v[18:19], v[135:136], v[66:67]
	v_add_f64 v[46:47], v[113:114], v[46:47]
	v_mul_f64 v[66:67], v[20:21], s[46:47]
	v_mul_f64 v[113:114], v[20:21], s[52:53]
	v_add_f64 v[48:49], v[115:116], v[48:49]
	v_add_f64 v[52:53], v[117:118], v[52:53]
	;; [unrolled: 1-line block ×13, first 2 shown]
	v_mul_f64 v[58:59], v[20:21], s[38:39]
	v_mul_f64 v[60:61], v[20:21], s[24:25]
	v_mul_f64 v[62:63], v[20:21], s[48:49]
	v_mul_f64 v[64:65], v[20:21], s[36:37]
	v_mul_f64 v[102:103], v[20:21], s[28:29]
	v_mul_f64 v[20:21], v[20:21], s[40:41]
	v_fma_f64 v[123:124], v[22:23], s[6:7], v[66:67]
	v_fma_f64 v[66:67], v[22:23], s[6:7], -v[66:67]
	v_fma_f64 v[127:128], v[22:23], s[18:19], v[113:114]
	v_fma_f64 v[113:114], v[22:23], s[18:19], -v[113:114]
	v_add_f64 v[2:3], v[16:17], v[2:3]
	v_add_f64 v[18:19], v[133:134], v[18:19]
	v_fma_f64 v[115:116], v[22:23], s[0:1], v[58:59]
	v_fma_f64 v[58:59], v[22:23], s[0:1], -v[58:59]
	v_fma_f64 v[117:118], v[22:23], s[4:5], v[60:61]
	v_fma_f64 v[60:61], v[22:23], s[4:5], -v[60:61]
	;; [unrolled: 2-line block ×6, first 2 shown]
	v_add_f64 v[52:53], v[113:114], v[52:53]
	v_add_f64 v[6:7], v[115:116], v[6:7]
	;; [unrolled: 1-line block ×3, first 2 shown]
	v_mul_f64 v[58:59], v[28:29], s[40:41]
	v_add_f64 v[12:13], v[60:61], v[12:13]
	v_mul_f64 v[60:61], v[28:29], s[46:47]
	v_add_f64 v[16:17], v[62:63], v[26:27]
	v_add_f64 v[22:23], v[121:122], v[34:35]
	;; [unrolled: 1-line block ×8, first 2 shown]
	v_mul_f64 v[54:55], v[28:29], s[20:21]
	v_mul_f64 v[56:57], v[28:29], s[50:51]
	;; [unrolled: 1-line block ×5, first 2 shown]
	v_add_f64 v[10:11], v[117:118], v[10:11]
	v_add_f64 v[14:15], v[119:120], v[14:15]
	v_mul_f64 v[28:29], v[28:29], s[26:27]
	v_add_f64 v[2:3], v[20:21], v[2:3]
	v_add_f64 v[18:19], v[129:130], v[18:19]
	v_fma_f64 v[115:116], v[30:31], s[8:9], v[58:59]
	v_fma_f64 v[58:59], v[30:31], s[8:9], -v[58:59]
	v_fma_f64 v[117:118], v[30:31], s[6:7], v[60:61]
	v_fma_f64 v[60:61], v[30:31], s[6:7], -v[60:61]
	;; [unrolled: 2-line block ×8, first 2 shown]
	v_add_f64 v[16:17], v[58:59], v[16:17]
	v_add_f64 v[20:21], v[117:118], v[22:23]
	;; [unrolled: 1-line block ×3, first 2 shown]
	v_mul_f64 v[58:59], v[24:25], s[42:43]
	v_mul_f64 v[60:61], v[24:25], s[44:45]
	v_add_f64 v[14:15], v[115:116], v[14:15]
	v_add_f64 v[6:7], v[102:103], v[6:7]
	;; [unrolled: 1-line block ×3, first 2 shown]
	v_mul_f64 v[54:55], v[24:25], s[34:35]
	v_add_f64 v[12:13], v[56:57], v[12:13]
	v_add_f64 v[26:27], v[119:120], v[34:35]
	;; [unrolled: 1-line block ×5, first 2 shown]
	v_mul_f64 v[40:41], v[24:25], s[26:27]
	v_add_f64 v[46:47], v[123:124], v[48:49]
	v_mul_f64 v[48:49], v[24:25], s[48:49]
	v_mul_f64 v[56:57], v[24:25], s[28:29]
	;; [unrolled: 1-line block ×4, first 2 shown]
	v_add_f64 v[52:53], v[66:67], v[52:53]
	v_fma_f64 v[115:116], v[38:39], s[0:1], v[58:59]
	v_fma_f64 v[58:59], v[38:39], s[0:1], -v[58:59]
	v_add_f64 v[2:3], v[28:29], v[2:3]
	v_add_f64 v[10:11], v[113:114], v[10:11]
	v_fma_f64 v[117:118], v[38:39], s[8:9], v[60:61]
	v_fma_f64 v[60:61], v[38:39], s[8:9], -v[60:61]
	v_add_f64 v[18:19], v[125:126], v[18:19]
	v_fma_f64 v[102:103], v[38:39], s[14:15], v[54:55]
	v_fma_f64 v[54:55], v[38:39], s[14:15], -v[54:55]
	v_fma_f64 v[64:65], v[38:39], s[18:19], v[40:41]
	v_fma_f64 v[40:41], v[38:39], s[18:19], -v[40:41]
	;; [unrolled: 2-line block ×3, first 2 shown]
	v_fma_f64 v[113:114], v[38:39], s[22:23], v[56:57]
	v_fma_f64 v[121:122], v[38:39], s[6:7], v[24:25]
	v_fma_f64 v[24:25], v[38:39], s[6:7], -v[24:25]
	v_fma_f64 v[56:57], v[38:39], s[22:23], -v[56:57]
	v_fma_f64 v[119:120], v[38:39], s[4:5], v[62:63]
	v_fma_f64 v[62:63], v[38:39], s[4:5], -v[62:63]
	v_add_f64 v[28:29], v[58:59], v[30:31]
	v_mul_f64 v[30:31], v[32:33], s[28:29]
	v_mul_f64 v[38:39], v[32:33], s[30:31]
	v_add_f64 v[36:37], v[60:61], v[36:37]
	v_add_f64 v[26:27], v[115:116], v[26:27]
	;; [unrolled: 1-line block ×5, first 2 shown]
	v_mul_f64 v[54:55], v[32:33], s[34:35]
	v_add_f64 v[6:7], v[64:65], v[6:7]
	v_add_f64 v[8:9], v[40:41], v[8:9]
	v_mul_f64 v[40:41], v[32:33], s[38:39]
	v_add_f64 v[12:13], v[48:49], v[12:13]
	v_mul_f64 v[48:49], v[32:33], s[52:53]
	v_add_f64 v[10:11], v[66:67], v[10:11]
	v_add_f64 v[2:3], v[24:25], v[2:3]
	v_mul_f64 v[24:25], v[32:33], s[40:41]
	v_add_f64 v[20:21], v[113:114], v[20:21]
	v_add_f64 v[22:23], v[56:57], v[22:23]
	;; [unrolled: 1-line block ×3, first 2 shown]
	v_mul_f64 v[56:57], v[32:33], s[24:25]
	v_mul_f64 v[32:33], v[32:33], s[20:21]
	v_fma_f64 v[58:59], v[42:43], s[22:23], v[30:31]
	v_fma_f64 v[30:31], v[42:43], s[22:23], -v[30:31]
	v_fma_f64 v[60:61], v[42:43], s[6:7], v[38:39]
	v_fma_f64 v[38:39], v[42:43], s[6:7], -v[38:39]
	v_add_f64 v[46:47], v[119:120], v[46:47]
	v_fma_f64 v[66:67], v[42:43], s[14:15], v[54:55]
	v_fma_f64 v[54:55], v[42:43], s[14:15], -v[54:55]
	v_add_f64 v[18:19], v[121:122], v[18:19]
	v_fma_f64 v[62:63], v[42:43], s[0:1], v[40:41]
	v_fma_f64 v[40:41], v[42:43], s[0:1], -v[40:41]
	v_fma_f64 v[64:65], v[42:43], s[18:19], v[48:49]
	v_fma_f64 v[48:49], v[42:43], s[18:19], -v[48:49]
	;; [unrolled: 2-line block ×5, first 2 shown]
	v_add_f64 v[8:9], v[30:31], v[8:9]
	v_add_f64 v[12:13], v[38:39], v[12:13]
	v_mul_f64 v[30:31], v[44:45], s[36:37]
	v_mul_f64 v[38:39], v[44:45], s[28:29]
	v_add_f64 v[28:29], v[54:55], v[28:29]
	v_mul_f64 v[42:43], v[44:45], s[26:27]
	v_mul_f64 v[54:55], v[44:45], s[20:21]
	v_add_f64 v[6:7], v[58:59], v[6:7]
	v_add_f64 v[10:11], v[60:61], v[10:11]
	;; [unrolled: 1-line block ×4, first 2 shown]
	v_mul_f64 v[40:41], v[44:45], s[40:41]
	v_add_f64 v[22:23], v[48:49], v[22:23]
	v_mul_f64 v[48:49], v[44:45], s[30:31]
	v_add_f64 v[20:21], v[64:65], v[20:21]
	v_add_f64 v[24:25], v[24:25], v[52:53]
	v_mul_f64 v[52:53], v[44:45], s[42:43]
	v_mul_f64 v[44:45], v[44:45], s[24:25]
	v_add_f64 v[34:35], v[102:103], v[34:35]
	v_add_f64 v[36:37], v[56:57], v[36:37]
	;; [unrolled: 1-line block ×6, first 2 shown]
	v_fma_f64 v[32:33], v[50:51], s[14:15], v[30:31]
	v_fma_f64 v[56:57], v[50:51], s[22:23], v[38:39]
	v_fma_f64 v[30:31], v[50:51], s[14:15], -v[30:31]
	v_fma_f64 v[60:61], v[50:51], s[18:19], v[42:43]
	v_fma_f64 v[64:65], v[50:51], s[16:17], v[54:55]
	v_fma_f64 v[54:55], v[50:51], s[16:17], -v[54:55]
	v_fma_f64 v[42:43], v[50:51], s[18:19], -v[42:43]
	;; [unrolled: 1-line block ×3, first 2 shown]
	v_fma_f64 v[58:59], v[50:51], s[8:9], v[40:41]
	v_fma_f64 v[40:41], v[50:51], s[8:9], -v[40:41]
	v_fma_f64 v[62:63], v[50:51], s[6:7], v[48:49]
	v_fma_f64 v[48:49], v[50:51], s[6:7], -v[48:49]
	v_fma_f64 v[66:67], v[50:51], s[0:1], v[52:53]
	v_fma_f64 v[102:103], v[50:51], s[4:5], v[44:45]
	v_fma_f64 v[52:53], v[50:51], s[0:1], -v[52:53]
	v_fma_f64 v[44:45], v[50:51], s[4:5], -v[44:45]
	v_add_f64 v[10:11], v[32:33], v[10:11]
	v_add_f64 v[14:15], v[56:57], v[14:15]
	;; [unrolled: 1-line block ×16, first 2 shown]
	v_lshlrev_b32_e32 v36, 7, v98
	v_add3_u32 v36, v112, v36, v99
	ds_write2_b64 v36, v[4:5], v[6:7] offset1:1
	ds_write2_b64 v36, v[10:11], v[14:15] offset0:2 offset1:3
	ds_write2_b64 v36, v[20:21], v[26:27] offset0:4 offset1:5
	;; [unrolled: 1-line block ×7, first 2 shown]
	ds_write_b64 v36, v[8:9] offset:128
.LBB0_14:
	s_or_b32 exec_lo, exec_lo, s33
	v_and_b32_e32 v2, 0xff, v98
	v_add_nc_u32_e32 v41, 0x55, v98
	v_add_nc_u32_e32 v40, 0xaa, v98
	v_add_nc_u32_e32 v3, 0xff, v98
	v_mov_b32_e32 v4, 0xf0f1
	v_mul_lo_u16 v2, 0xf1, v2
	v_and_b32_e32 v66, 0xff, v41
	v_and_b32_e32 v102, 0xff, v40
	v_add_nc_u32_e32 v12, 0x154, v98
	s_load_dwordx2 s[2:3], s[2:3], 0x0
	v_lshrrev_b16 v67, 12, v2
	v_mul_u32_u24_sdwa v2, v3, v4 dst_sel:DWORD dst_unused:UNUSED_PAD src0_sel:WORD_0 src1_sel:DWORD
	v_mul_lo_u16 v5, 0xf1, v66
	v_mul_lo_u16 v7, 0xf1, v102
	v_mul_u32_u24_sdwa v4, v12, v4 dst_sel:DWORD dst_unused:UNUSED_PAD src0_sel:WORD_0 src1_sel:DWORD
	v_mul_lo_u16 v6, v67, 17
	v_lshrrev_b32_e32 v103, 20, v2
	v_lshrrev_b16 v124, 12, v5
	v_lshrrev_b16 v126, 12, v7
	v_mov_b32_e32 v2, 5
	v_sub_nc_u16 v125, v98, v6
	v_mul_lo_u16 v5, v103, 17
	v_mul_lo_u16 v6, v124, 17
	v_lshrrev_b32_e32 v127, 20, v4
	v_mul_lo_u16 v9, v126, 17
	v_lshlrev_b32_sdwa v8, v2, v125 dst_sel:DWORD dst_unused:UNUSED_PAD src0_sel:DWORD src1_sel:BYTE_0
	v_sub_nc_u16 v128, v3, v5
	v_sub_nc_u16 v129, v41, v6
	v_mul_lo_u16 v3, v127, 17
	v_sub_nc_u16 v130, v40, v9
	s_waitcnt lgkmcnt(0)
	v_lshlrev_b32_sdwa v32, v2, v128 dst_sel:DWORD dst_unused:UNUSED_PAD src0_sel:DWORD src1_sel:WORD_0
	v_lshlrev_b32_sdwa v20, v2, v129 dst_sel:DWORD dst_unused:UNUSED_PAD src0_sel:DWORD src1_sel:BYTE_0
	s_barrier
	buffer_gl0_inv
	s_clause 0x1
	global_load_dwordx4 v[4:7], v8, s[12:13]
	global_load_dwordx4 v[8:11], v8, s[12:13] offset:16
	v_sub_nc_u16 v131, v12, v3
	v_lshlrev_b32_sdwa v3, v2, v130 dst_sel:DWORD dst_unused:UNUSED_PAD src0_sel:DWORD src1_sel:BYTE_0
	s_clause 0x2
	global_load_dwordx4 v[12:15], v32, s[12:13]
	global_load_dwordx4 v[16:19], v20, s[12:13] offset:16
	global_load_dwordx4 v[20:23], v20, s[12:13]
	v_cmp_gt_u32_e64 s0, 51, v98
	v_mov_b32_e32 v37, 0
	v_lshlrev_b32_sdwa v2, v2, v131 dst_sel:DWORD dst_unused:UNUSED_PAD src0_sel:DWORD src1_sel:WORD_0
	s_clause 0x4
	global_load_dwordx4 v[24:27], v3, s[12:13]
	global_load_dwordx4 v[28:31], v3, s[12:13] offset:16
	global_load_dwordx4 v[32:35], v32, s[12:13] offset:16
	global_load_dwordx4 v[42:45], v2, s[12:13]
	global_load_dwordx4 v[46:49], v2, s[12:13] offset:16
	v_subrev_nc_u32_e32 v2, 51, v98
	ds_read_b64 v[38:39], v104
	ds_read2_b64 v[50:53], v106 offset0:169 offset1:254
	ds_read2_b64 v[54:57], v107 offset0:125 offset1:210
	;; [unrolled: 1-line block ×7, first 2 shown]
	v_mul_lo_u16 v132, 0xa1, v66
	v_mul_lo_u16 v102, 0xa1, v102
	v_and_b32_e32 v133, 0xffff, v67
	v_cndmask_b32_e64 v3, v2, v98, s0
	v_mov_b32_e32 v2, 3
	v_and_b32_e32 v124, 0xffff, v124
	v_and_b32_e32 v126, 0xffff, v126
	v_mad_u32_u24 v103, 0x198, v103, 0
	v_lshlrev_b32_e32 v36, 2, v3
	v_lshrrev_b16 v143, 13, v102
	v_mad_u32_u24 v102, 0x198, v133, 0
	v_lshlrev_b32_sdwa v125, v2, v125 dst_sel:DWORD dst_unused:UNUSED_PAD src0_sel:DWORD src1_sel:BYTE_0
	v_mad_u32_u24 v144, 0x198, v124, 0
	v_lshlrev_b64 v[66:67], 4, v[36:37]
	v_lshrrev_b16 v36, 13, v132
	v_lshlrev_b32_sdwa v124, v2, v128 dst_sel:DWORD dst_unused:UNUSED_PAD src0_sel:DWORD src1_sel:WORD_0
	v_mad_u32_u24 v127, 0x198, v127, 0
	v_mad_u32_u24 v145, 0x198, v126, 0
	v_lshlrev_b32_sdwa v126, v2, v131 dst_sel:DWORD dst_unused:UNUSED_PAD src0_sel:DWORD src1_sel:WORD_0
	v_mul_lo_u16 v132, v36, 51
	v_add3_u32 v147, v102, v125, v99
	v_add3_u32 v150, v103, v124, v99
	v_lshlrev_b32_sdwa v148, v2, v129 dst_sel:DWORD dst_unused:UNUSED_PAD src0_sel:DWORD src1_sel:BYTE_0
	v_lshlrev_b32_sdwa v149, v2, v130 dst_sel:DWORD dst_unused:UNUSED_PAD src0_sel:DWORD src1_sel:BYTE_0
	v_add3_u32 v151, v127, v126, v99
	v_sub_nc_u16 v146, v41, v132
	s_mov_b32 s4, 0xe8584caa
	s_mov_b32 s5, 0x3febb67a
	;; [unrolled: 1-line block ×4, first 2 shown]
	v_mov_b32_e32 v142, 6
	v_add_co_u32 v66, s0, s12, v66
	s_waitcnt vmcnt(0) lgkmcnt(0)
	s_barrier
	buffer_gl0_inv
	v_add_co_ci_u32_e64 v67, s0, s13, v67, s0
	v_cmp_lt_u32_e64 s0, 50, v98
	s_mov_b32 s15, 0xbfee6f0e
	s_mov_b32 s9, 0xbfe2cf23
	v_mul_f64 v[102:103], v[50:51], v[6:7]
	v_mul_f64 v[6:7], v[88:89], v[6:7]
	;; [unrolled: 1-line block ×20, first 2 shown]
	v_fma_f64 v[88:89], v[88:89], v[4:5], -v[102:103]
	v_fma_f64 v[4:5], v[50:51], v[4:5], v[6:7]
	v_fma_f64 v[6:7], v[78:79], v[8:9], -v[124:125]
	v_fma_f64 v[8:9], v[56:57], v[8:9], v[10:11]
	;; [unrolled: 2-line block ×3, first 2 shown]
	v_fma_f64 v[14:15], v[90:91], v[20:21], -v[128:129]
	v_fma_f64 v[50:51], v[84:85], v[16:17], -v[130:131]
	;; [unrolled: 1-line block ×5, first 2 shown]
	v_fma_f64 v[32:33], v[120:121], v[32:33], v[34:35]
	v_fma_f64 v[34:35], v[76:77], v[42:43], -v[138:139]
	v_fma_f64 v[76:77], v[82:83], v[46:47], -v[140:141]
	v_fma_f64 v[42:43], v[54:55], v[42:43], v[44:45]
	v_fma_f64 v[44:45], v[122:123], v[46:47], v[48:49]
	;; [unrolled: 1-line block ×6, first 2 shown]
	v_add3_u32 v120, v144, v148, v99
	v_add3_u32 v121, v145, v149, v99
	v_add_f64 v[24:25], v[0:1], v[88:89]
	v_add_f64 v[30:31], v[38:39], v[4:5]
	;; [unrolled: 1-line block ×3, first 2 shown]
	v_add_f64 v[28:29], v[4:5], -v[8:9]
	v_add_f64 v[4:5], v[4:5], v[8:9]
	v_add_f64 v[46:47], v[88:89], -v[6:7]
	v_add_f64 v[92:93], v[68:69], v[14:15]
	v_add_f64 v[48:49], v[14:15], v[50:51]
	v_add_f64 v[82:83], v[116:117], v[12:13]
	v_add_f64 v[54:55], v[56:57], v[78:79]
	v_add_f64 v[62:63], v[10:11], v[80:81]
	v_add_f64 v[64:65], v[12:13], -v[32:33]
	v_add_f64 v[12:13], v[12:13], v[32:33]
	v_add_f64 v[84:85], v[34:35], v[76:77]
	;; [unrolled: 1-line block ×3, first 2 shown]
	v_add_f64 v[88:89], v[42:43], -v[44:45]
	v_add_f64 v[42:43], v[42:43], v[44:45]
	v_add_f64 v[102:103], v[20:21], v[16:17]
	v_add_f64 v[94:95], v[20:21], -v[16:17]
	v_add_f64 v[112:113], v[18:19], v[22:23]
	v_add_f64 v[52:53], v[72:73], v[10:11]
	;; [unrolled: 1-line block ×5, first 2 shown]
	v_fma_f64 v[0:1], v[26:27], -0.5, v[0:1]
	v_add_f64 v[14:15], v[14:15], -v[50:51]
	v_fma_f64 v[4:5], v[4:5], -0.5, v[38:39]
	v_add_f64 v[56:57], v[56:57], -v[78:79]
	v_add_f64 v[10:11], v[10:11], -v[80:81]
	v_fma_f64 v[26:27], v[48:49], -0.5, v[68:69]
	v_add_f64 v[48:49], v[18:19], -v[22:23]
	v_fma_f64 v[54:55], v[54:55], -0.5, v[70:71]
	v_fma_f64 v[62:63], v[62:63], -0.5, v[72:73]
	v_add_f64 v[70:71], v[30:31], v[8:9]
	v_add_f64 v[18:19], v[60:61], v[18:19]
	v_fma_f64 v[68:69], v[84:85], -0.5, v[74:75]
	v_add_f64 v[38:39], v[90:91], v[44:45]
	v_add_f64 v[44:45], v[92:93], v[50:51]
	v_fma_f64 v[30:31], v[42:43], -0.5, v[118:119]
	v_fma_f64 v[42:43], v[102:103], -0.5, v[58:59]
	;; [unrolled: 1-line block ×4, first 2 shown]
	v_add_f64 v[34:35], v[34:35], -v[76:77]
	v_add_f64 v[6:7], v[24:25], v[6:7]
	v_add_f64 v[8:9], v[52:53], v[80:81]
	;; [unrolled: 1-line block ×3, first 2 shown]
	v_fma_f64 v[58:59], v[28:29], s[4:5], v[0:1]
	v_fma_f64 v[0:1], v[28:29], s[6:7], v[0:1]
	v_add_f64 v[24:25], v[86:87], v[76:77]
	v_fma_f64 v[76:77], v[46:47], s[6:7], v[4:5]
	v_fma_f64 v[46:47], v[46:47], s[4:5], v[4:5]
	;; [unrolled: 1-line block ×9, first 2 shown]
	v_add_f64 v[72:73], v[20:21], v[16:17]
	v_fma_f64 v[68:69], v[88:89], s[6:7], v[68:69]
	v_add_f64 v[74:75], v[18:19], v[22:23]
	v_fma_f64 v[84:85], v[14:15], s[6:7], v[42:43]
	v_fma_f64 v[42:43], v[14:15], s[4:5], v[42:43]
	;; [unrolled: 1-line block ×4, first 2 shown]
	v_add_f64 v[32:33], v[82:83], v[32:33]
	v_fma_f64 v[78:79], v[10:11], s[6:7], v[12:13]
	v_fma_f64 v[80:81], v[10:11], s[4:5], v[12:13]
	;; [unrolled: 1-line block ×4, first 2 shown]
	ds_write2_b64 v147, v[6:7], v[58:59] offset1:17
	ds_write_b64 v147, v[0:1] offset:272
	ds_write2_b64 v120, v[44:45], v[28:29] offset1:17
	ds_write_b64 v120, v[26:27] offset:272
	;; [unrolled: 2-line block ×5, first 2 shown]
	v_mul_lo_u16 v0, v143, 51
	v_lshlrev_b32_sdwa v1, v142, v146 dst_sel:DWORD dst_unused:UNUSED_PAD src0_sel:DWORD src1_sel:BYTE_0
	s_waitcnt lgkmcnt(0)
	s_barrier
	buffer_gl0_inv
	v_sub_nc_u16 v0, v40, v0
	ds_read_b64 v[94:95], v104
	ds_read2_b64 v[4:7], v111 offset0:127 offset1:212
	ds_read2_b64 v[8:11], v106 offset0:169 offset1:254
	;; [unrolled: 1-line block ×7, first 2 shown]
	s_waitcnt lgkmcnt(0)
	s_barrier
	buffer_gl0_inv
	ds_write2_b64 v147, v[70:71], v[76:77] offset1:17
	ds_write_b64 v147, v[46:47] offset:272
	ds_write2_b64 v120, v[72:73], v[84:85] offset1:17
	ds_write_b64 v120, v[42:43] offset:272
	;; [unrolled: 2-line block ×5, first 2 shown]
	s_waitcnt lgkmcnt(0)
	s_barrier
	buffer_gl0_inv
	s_clause 0x5
	global_load_dwordx4 v[32:35], v[66:67], off offset:544
	global_load_dwordx4 v[42:45], v[66:67], off offset:560
	;; [unrolled: 1-line block ×4, first 2 shown]
	global_load_dwordx4 v[54:57], v1, s[12:13] offset:544
	global_load_dwordx4 v[58:61], v1, s[12:13] offset:560
	v_lshlrev_b32_sdwa v38, v142, v0 dst_sel:DWORD dst_unused:UNUSED_PAD src0_sel:DWORD src1_sel:BYTE_0
	s_clause 0x5
	global_load_dwordx4 v[62:65], v1, s[12:13] offset:576
	global_load_dwordx4 v[66:69], v1, s[12:13] offset:592
	;; [unrolled: 1-line block ×6, first 2 shown]
	v_cndmask_b32_e64 v1, 0, 0x7f8, s0
	ds_read2_b64 v[86:89], v111 offset0:127 offset1:212
	ds_read2_b64 v[90:93], v106 offset0:169 offset1:254
	;; [unrolled: 1-line block ×4, first 2 shown]
	v_add_nc_u32_e32 v38, 0, v1
	v_and_b32_e32 v1, 0xffff, v36
	v_lshlrev_b32_e32 v39, 3, v3
	v_lshlrev_b32_sdwa v103, v2, v146 dst_sel:DWORD dst_unused:UNUSED_PAD src0_sel:DWORD src1_sel:BYTE_0
	v_lshlrev_b32_sdwa v124, v2, v0 dst_sel:DWORD dst_unused:UNUSED_PAD src0_sel:DWORD src1_sel:BYTE_0
	ds_read2_b64 v[120:123], v110 offset0:81 offset1:166
	v_mad_u32_u24 v102, 0x7f8, v1, 0
	ds_read2_b64 v[0:3], v108 offset0:83 offset1:168
	v_and_b32_e32 v36, 0xffff, v143
	v_add3_u32 v174, v38, v39, v99
	s_mov_b32 s6, 0x134454ff
	v_add3_u32 v175, v102, v103, v99
	s_mov_b32 s7, 0x3fee6f0e
	v_mad_u32_u24 v36, 0x7f8, v36, 0
	s_mov_b32 s14, s6
	s_mov_b32 s4, 0x4755a5e
	;; [unrolled: 1-line block ×4, first 2 shown]
	v_add3_u32 v36, v36, v124, v99
	ds_read_b64 v[38:39], v104
	ds_read2_b64 v[124:127], v105 offset0:85 offset1:170
	s_mov_b32 s0, 0x372fe950
	s_mov_b32 s1, 0x3fd3c6ef
	s_waitcnt vmcnt(0) lgkmcnt(0)
	s_barrier
	buffer_gl0_inv
	v_mul_f64 v[102:103], v[86:87], v[34:35]
	v_mul_f64 v[128:129], v[92:93], v[44:45]
	;; [unrolled: 1-line block ×22, first 2 shown]
	v_fma_f64 v[4:5], v[4:5], v[32:33], -v[102:103]
	v_fma_f64 v[10:11], v[10:11], v[42:43], -v[128:129]
	;; [unrolled: 1-line block ×4, first 2 shown]
	v_mul_f64 v[76:77], v[26:27], v[76:77]
	v_fma_f64 v[6:7], v[6:7], v[54:55], -v[134:135]
	v_fma_f64 v[24:25], v[24:25], v[58:59], -v[136:137]
	;; [unrolled: 1-line block ×3, first 2 shown]
	v_mul_f64 v[80:81], v[16:17], v[80:81]
	v_fma_f64 v[32:33], v[86:87], v[32:33], v[34:35]
	v_fma_f64 v[34:35], v[92:93], v[42:43], v[44:45]
	;; [unrolled: 1-line block ×4, first 2 shown]
	v_fma_f64 v[28:29], v[28:29], v[66:67], -v[140:141]
	v_fma_f64 v[8:9], v[8:9], v[70:71], -v[142:143]
	;; [unrolled: 1-line block ×5, first 2 shown]
	v_fma_f64 v[46:47], v[88:89], v[54:55], v[56:57]
	v_fma_f64 v[0:1], v[0:1], v[58:59], v[60:61]
	;; [unrolled: 1-line block ×6, first 2 shown]
	v_add_f64 v[58:59], v[94:95], v[4:5]
	v_add_f64 v[60:61], v[10:11], v[12:13]
	v_add_f64 v[66:67], v[4:5], -v[10:11]
	v_add_f64 v[68:69], v[18:19], -v[12:13]
	v_add_f64 v[70:71], v[4:5], v[18:19]
	v_fma_f64 v[2:3], v[2:3], v[74:75], v[76:77]
	v_add_f64 v[72:73], v[10:11], -v[4:5]
	v_add_f64 v[74:75], v[12:13], -v[18:19]
	v_add_f64 v[90:91], v[20:21], v[6:7]
	v_add_f64 v[92:93], v[24:25], v[14:15]
	v_fma_f64 v[54:55], v[116:117], v[78:79], v[80:81]
	v_add_f64 v[78:79], v[34:35], v[44:45]
	v_add_f64 v[86:87], v[32:33], v[42:43]
	;; [unrolled: 1-line block ×3, first 2 shown]
	v_add_f64 v[62:63], v[32:33], -v[42:43]
	v_add_f64 v[76:77], v[38:39], v[32:33]
	v_add_f64 v[82:83], v[32:33], -v[34:35]
	v_add_f64 v[32:33], v[34:35], -v[32:33]
	;; [unrolled: 1-line block ×3, first 2 shown]
	v_add_f64 v[142:143], v[22:23], v[8:9]
	v_add_f64 v[144:145], v[26:27], v[16:17]
	;; [unrolled: 1-line block ×3, first 2 shown]
	v_add_f64 v[80:81], v[10:11], -v[12:13]
	v_add_f64 v[84:85], v[42:43], -v[44:45]
	;; [unrolled: 1-line block ×4, first 2 shown]
	v_add_f64 v[128:129], v[124:125], v[46:47]
	v_add_f64 v[130:131], v[0:1], v[48:49]
	;; [unrolled: 1-line block ×5, first 2 shown]
	v_fma_f64 v[58:59], v[60:61], -0.5, v[94:95]
	v_add_f64 v[64:65], v[34:35], -v[44:45]
	v_add_f64 v[60:61], v[66:67], v[68:69]
	v_fma_f64 v[66:67], v[70:71], -0.5, v[94:95]
	v_add_f64 v[102:103], v[46:47], -v[50:51]
	v_add_f64 v[120:121], v[24:25], -v[6:7]
	;; [unrolled: 1-line block ×3, first 2 shown]
	v_add_f64 v[68:69], v[72:73], v[74:75]
	v_add_f64 v[24:25], v[90:91], v[24:25]
	v_fma_f64 v[74:75], v[92:93], -0.5, v[20:21]
	v_add_f64 v[112:113], v[0:1], -v[48:49]
	v_add_f64 v[122:123], v[14:15], -v[28:29]
	v_fma_f64 v[70:71], v[78:79], -0.5, v[38:39]
	v_fma_f64 v[38:39], v[86:87], -0.5, v[38:39]
	;; [unrolled: 1-line block ×3, first 2 shown]
	v_add_f64 v[146:147], v[52:53], -v[56:57]
	v_add_f64 v[150:151], v[8:9], -v[26:27]
	;; [unrolled: 1-line block ×4, first 2 shown]
	v_add_f64 v[32:33], v[32:33], v[88:89]
	v_add_f64 v[26:27], v[142:143], v[26:27]
	v_fma_f64 v[88:89], v[144:145], -0.5, v[22:23]
	v_add_f64 v[148:149], v[2:3], -v[54:55]
	v_add_f64 v[162:163], v[2:3], v[54:55]
	v_fma_f64 v[22:23], v[154:155], -0.5, v[22:23]
	v_add_f64 v[4:5], v[4:5], -v[18:19]
	v_add_f64 v[34:35], v[76:77], v[34:35]
	v_add_f64 v[160:161], v[126:127], v[52:53]
	v_add_f64 v[6:7], v[6:7], -v[28:29]
	v_add_f64 v[134:135], v[46:47], -v[0:1]
	;; [unrolled: 1-line block ×3, first 2 shown]
	v_add_f64 v[72:73], v[82:83], v[84:85]
	v_add_f64 v[76:77], v[114:115], v[116:117]
	;; [unrolled: 1-line block ×3, first 2 shown]
	v_fma_f64 v[82:83], v[130:131], -0.5, v[124:125]
	v_fma_f64 v[86:87], v[138:139], -0.5, v[124:125]
	;; [unrolled: 1-line block ×3, first 2 shown]
	v_add_f64 v[10:11], v[10:11], v[12:13]
	v_fma_f64 v[12:13], v[62:63], s[6:7], v[58:59]
	v_fma_f64 v[58:59], v[62:63], s[14:15], v[58:59]
	;; [unrolled: 1-line block ×4, first 2 shown]
	v_add_f64 v[14:15], v[24:25], v[14:15]
	v_fma_f64 v[24:25], v[102:103], s[6:7], v[74:75]
	v_add_f64 v[78:79], v[120:121], v[122:123]
	v_fma_f64 v[120:121], v[80:81], s[6:7], v[38:39]
	v_fma_f64 v[38:39], v[80:81], s[14:15], v[38:39]
	;; [unrolled: 1-line block ×5, first 2 shown]
	v_add_f64 v[152:153], v[30:31], -v[16:17]
	v_add_f64 v[158:159], v[16:17], -v[30:31]
	v_add_f64 v[16:17], v[26:27], v[16:17]
	v_fma_f64 v[26:27], v[146:147], s[6:7], v[88:89]
	v_fma_f64 v[94:95], v[162:163], -0.5, v[126:127]
	v_fma_f64 v[126:127], v[148:149], s[14:15], v[22:23]
	v_fma_f64 v[22:23], v[148:149], s[6:7], v[22:23]
	v_add_f64 v[34:35], v[34:35], v[44:45]
	v_fma_f64 v[44:45], v[4:5], s[14:15], v[70:71]
	v_fma_f64 v[70:71], v[4:5], s[6:7], v[70:71]
	;; [unrolled: 1-line block ×3, first 2 shown]
	v_add_f64 v[8:9], v[8:9], -v[30:31]
	v_add_f64 v[166:167], v[52:53], -v[2:3]
	;; [unrolled: 1-line block ×3, first 2 shown]
	v_add_f64 v[2:3], v[160:161], v[2:3]
	v_add_f64 v[136:137], v[50:51], -v[48:49]
	v_add_f64 v[140:141], v[48:49], -v[50:51]
	;; [unrolled: 1-line block ×3, first 2 shown]
	v_add_f64 v[0:1], v[0:1], v[48:49]
	v_fma_f64 v[48:49], v[6:7], s[14:15], v[82:83]
	v_fma_f64 v[124:125], v[132:133], s[6:7], v[86:87]
	;; [unrolled: 1-line block ×6, first 2 shown]
	v_add_f64 v[10:11], v[10:11], v[18:19]
	v_fma_f64 v[18:19], v[64:65], s[8:9], v[58:59]
	v_fma_f64 v[58:59], v[62:63], s[4:5], v[118:119]
	;; [unrolled: 1-line block ×8, first 2 shown]
	v_add_f64 v[14:15], v[14:15], v[28:29]
	v_fma_f64 v[28:29], v[112:113], s[8:9], v[74:75]
	v_add_f64 v[90:91], v[150:151], v[152:153]
	v_fma_f64 v[26:27], v[148:149], s[4:5], v[26:27]
	;; [unrolled: 2-line block ×3, first 2 shown]
	v_fma_f64 v[22:23], v[146:147], s[8:9], v[22:23]
	v_add_f64 v[34:35], v[34:35], v[42:43]
	v_fma_f64 v[42:43], v[80:81], s[8:9], v[44:45]
	v_fma_f64 v[44:45], v[80:81], s[4:5], v[70:71]
	;; [unrolled: 1-line block ×4, first 2 shown]
	v_add_f64 v[168:169], v[56:57], -v[54:55]
	v_add_f64 v[2:3], v[2:3], v[54:55]
	v_fma_f64 v[54:55], v[8:9], s[14:15], v[94:95]
	v_fma_f64 v[94:95], v[8:9], s[6:7], v[94:95]
	v_add_f64 v[84:85], v[134:135], v[136:137]
	v_add_f64 v[46:47], v[46:47], v[140:141]
	;; [unrolled: 1-line block ×4, first 2 shown]
	v_fma_f64 v[0:1], v[132:133], s[8:9], v[48:49]
	v_fma_f64 v[74:75], v[6:7], s[8:9], v[124:125]
	;; [unrolled: 1-line block ×13, first 2 shown]
	v_add_f64 v[16:17], v[16:17], v[30:31]
	v_fma_f64 v[26:27], v[90:91], s[0:1], v[26:27]
	v_fma_f64 v[62:63], v[92:93], s[0:1], v[66:67]
	;; [unrolled: 1-line block ×5, first 2 shown]
	v_add_f64 v[114:115], v[166:167], v[168:169]
	v_fma_f64 v[30:31], v[164:165], s[8:9], v[54:55]
	v_fma_f64 v[54:55], v[164:165], s[4:5], v[94:95]
	v_add_f64 v[56:57], v[2:3], v[56:57]
	v_fma_f64 v[42:43], v[72:73], s[0:1], v[42:43]
	v_fma_f64 v[44:45], v[72:73], s[0:1], v[44:45]
	;; [unrolled: 1-line block ×9, first 2 shown]
	ds_write2_b64 v174, v[10:11], v[12:13] offset1:51
	ds_write2_b64 v174, v[58:59], v[60:61] offset0:102 offset1:153
	ds_write_b64 v174, v[18:19] offset:1632
	ds_write2_b64 v175, v[14:15], v[24:25] offset1:51
	ds_write2_b64 v175, v[38:39], v[20:21] offset0:102 offset1:153
	ds_write_b64 v175, v[28:29] offset:1632
	;; [unrolled: 3-line block ×3, first 2 shown]
	s_waitcnt lgkmcnt(0)
	s_barrier
	buffer_gl0_inv
	ds_read_b64 v[38:39], v104
	ds_read2_b64 v[12:15], v111 offset0:127 offset1:212
	ds_read2_b64 v[4:7], v106 offset0:169 offset1:254
	;; [unrolled: 1-line block ×7, first 2 shown]
	s_waitcnt lgkmcnt(0)
	s_barrier
	buffer_gl0_inv
	v_fma_f64 v[48:49], v[84:85], s[0:1], v[48:49]
	v_fma_f64 v[30:31], v[114:115], s[0:1], v[30:31]
	;; [unrolled: 1-line block ×3, first 2 shown]
	ds_write2_b64 v174, v[34:35], v[42:43] offset1:51
	ds_write2_b64 v174, v[64:65], v[32:33] offset0:102 offset1:153
	ds_write_b64 v174, v[44:45] offset:1632
	ds_write2_b64 v175, v[50:51], v[68:69] offset1:51
	ds_write2_b64 v175, v[70:71], v[46:47] offset0:102 offset1:153
	ds_write_b64 v175, v[48:49] offset:1632
	;; [unrolled: 3-line block ×3, first 2 shown]
	s_waitcnt lgkmcnt(0)
	s_barrier
	buffer_gl0_inv
	s_and_saveexec_b32 s16, vcc_lo
	s_cbranch_execz .LBB0_16
; %bb.15:
	v_lshlrev_b32_e32 v36, 2, v40
	v_mul_lo_u32 v94, s2, v101
	v_mad_u64_u32 v[108:109], null, s2, v100, 0
	v_mul_hi_u32 v118, 0x80808081, v40
	v_lshlrev_b64 v[28:29], 4, v[36:37]
	v_lshlrev_b32_e32 v36, 2, v41
	v_mul_hi_u32 v41, 0x80808081, v41
	v_add_nc_u32_e32 v86, 0x1000, v105
	v_add_nc_u32_e32 v95, 0x1800, v105
	;; [unrolled: 1-line block ×3, first 2 shown]
	v_add_co_u32 v30, vcc_lo, s12, v28
	v_add_co_ci_u32_e32 v31, vcc_lo, s13, v29, vcc_lo
	v_lshlrev_b64 v[28:29], 4, v[36:37]
	v_add_co_u32 v46, vcc_lo, 0xee0, v30
	v_add_co_ci_u32_e32 v47, vcc_lo, 0, v31, vcc_lo
	v_add_co_u32 v30, vcc_lo, 0x800, v30
	v_add_co_ci_u32_e32 v31, vcc_lo, 0, v31, vcc_lo
	v_add_co_u32 v42, vcc_lo, s12, v28
	v_lshlrev_b32_e32 v36, 2, v98
	v_add_co_ci_u32_e32 v43, vcc_lo, s13, v29, vcc_lo
	v_add_co_u32 v50, vcc_lo, 0x800, v42
	v_lshlrev_b64 v[58:59], 4, v[36:37]
	v_add_co_ci_u32_e32 v51, vcc_lo, 0, v43, vcc_lo
	v_add_co_u32 v62, vcc_lo, 0xee0, v42
	v_add_co_ci_u32_e32 v63, vcc_lo, 0, v43, vcc_lo
	v_add_co_u32 v36, vcc_lo, s12, v58
	v_add_co_ci_u32_e32 v66, vcc_lo, s13, v59, vcc_lo
	s_clause 0x1
	global_load_dwordx4 v[28:31], v[30:31], off offset:1760
	global_load_dwordx4 v[32:35], v[46:47], off offset:48
	v_add_co_u32 v78, vcc_lo, 0xee0, v36
	v_add_co_ci_u32_e32 v79, vcc_lo, 0, v66, vcc_lo
	v_add_co_u32 v70, vcc_lo, 0x800, v36
	v_add_co_ci_u32_e32 v71, vcc_lo, 0, v66, vcc_lo
	s_clause 0x9
	global_load_dwordx4 v[42:45], v[46:47], off offset:32
	global_load_dwordx4 v[46:49], v[46:47], off offset:16
	;; [unrolled: 1-line block ×10, first 2 shown]
	v_mul_lo_u32 v36, s3, v100
	v_add_nc_u32_e32 v90, 0x800, v105
	v_add_nc_u32_e32 v100, 0x2000, v105
	;; [unrolled: 1-line block ×3, first 2 shown]
	ds_read2_b64 v[82:85], v105 offset0:85 offset1:170
	ds_read_b64 v[112:113], v104
	v_lshlrev_b64 v[114:115], 4, v[96:97]
	ds_read2_b64 v[86:89], v86 offset0:83 offset1:168
	ds_read2_b64 v[90:93], v90 offset0:169 offset1:254
	v_add3_u32 v109, v109, v94, v36
	v_lshrrev_b32_e32 v36, 7, v41
	ds_read2_b64 v[94:97], v95 offset0:167 offset1:252
	ds_read2_b64 v[100:103], v100 offset0:81 offset1:166
	;; [unrolled: 1-line block ×3, first 2 shown]
	v_lshrrev_b32_e32 v41, 7, v118
	v_mov_b32_e32 v99, v37
	v_lshlrev_b64 v[116:117], 4, v[108:109]
	ds_read2_b64 v[108:111], v110 offset0:125 offset1:210
	v_mul_u32_u24_e32 v36, 0x3fc, v36
	v_lshlrev_b64 v[98:99], 4, v[98:99]
	v_add_co_u32 v118, vcc_lo, s10, v116
	v_add_co_ci_u32_e32 v119, vcc_lo, s11, v117, vcc_lo
	v_lshlrev_b64 v[116:117], 4, v[36:37]
	v_mad_u32_u24 v36, 0x3fc, v41, v40
	v_add_co_u32 v40, vcc_lo, v118, v114
	v_add_co_ci_u32_e32 v41, vcc_lo, v119, v115, vcc_lo
	v_lshlrev_b64 v[36:37], 4, v[36:37]
	v_add_co_u32 v98, vcc_lo, v40, v98
	v_add_co_ci_u32_e32 v99, vcc_lo, v41, v99, vcc_lo
	v_add_co_u32 v114, vcc_lo, v40, v36
	v_add_co_ci_u32_e32 v115, vcc_lo, v41, v37, vcc_lo
	;; [unrolled: 2-line block ×12, first 2 shown]
	s_waitcnt vmcnt(11)
	v_mul_f64 v[40:41], v[4:5], v[30:31]
	s_waitcnt vmcnt(10)
	v_mul_f64 v[138:139], v[26:27], v[34:35]
	s_waitcnt lgkmcnt(4)
	v_mul_f64 v[30:31], v[90:91], v[30:31]
	s_waitcnt lgkmcnt(2)
	v_mul_f64 v[34:35], v[102:103], v[34:35]
	s_waitcnt vmcnt(9)
	v_mul_f64 v[136:137], v[16:17], v[44:45]
	s_waitcnt vmcnt(8)
	v_mul_f64 v[36:37], v[22:23], v[48:49]
	v_mul_f64 v[48:49], v[88:89], v[48:49]
	;; [unrolled: 1-line block ×3, first 2 shown]
	s_waitcnt vmcnt(4)
	v_mul_f64 v[140:141], v[20:21], v[64:65]
	v_mul_f64 v[142:143], v[14:15], v[52:53]
	;; [unrolled: 1-line block ×4, first 2 shown]
	s_waitcnt lgkmcnt(1)
	v_mul_f64 v[52:53], v[106:107], v[52:53]
	v_mul_f64 v[56:57], v[100:101], v[56:57]
	;; [unrolled: 1-line block ×3, first 2 shown]
	s_waitcnt lgkmcnt(0)
	v_mul_f64 v[60:61], v[110:111], v[60:61]
	s_waitcnt vmcnt(3)
	v_mul_f64 v[148:149], v[6:7], v[68:69]
	s_waitcnt vmcnt(2)
	;; [unrolled: 2-line block ×4, first 2 shown]
	v_mul_f64 v[154:155], v[18:19], v[80:81]
	v_mul_f64 v[72:73], v[104:105], v[72:73]
	;; [unrolled: 1-line block ×5, first 2 shown]
	v_fma_f64 v[40:41], v[90:91], v[28:29], v[40:41]
	v_fma_f64 v[90:91], v[102:103], v[32:33], v[138:139]
	v_fma_f64 v[4:5], v[4:5], v[28:29], -v[30:31]
	v_fma_f64 v[36:37], v[88:89], v[46:47], v[36:37]
	v_fma_f64 v[88:89], v[94:95], v[42:43], v[136:137]
	v_fma_f64 v[26:27], v[26:27], v[32:33], -v[34:35]
	v_fma_f64 v[22:23], v[22:23], v[46:47], -v[48:49]
	;; [unrolled: 1-line block ×3, first 2 shown]
	v_fma_f64 v[28:29], v[86:87], v[62:63], v[140:141]
	v_fma_f64 v[30:31], v[106:107], v[50:51], v[142:143]
	;; [unrolled: 1-line block ×4, first 2 shown]
	v_fma_f64 v[14:15], v[14:15], v[50:51], -v[52:53]
	v_fma_f64 v[24:25], v[24:25], v[54:55], -v[56:57]
	;; [unrolled: 1-line block ×4, first 2 shown]
	v_fma_f64 v[42:43], v[92:93], v[66:67], v[148:149]
	v_fma_f64 v[46:47], v[108:109], v[74:75], v[152:153]
	v_fma_f64 v[12:13], v[12:13], v[70:71], -v[72:73]
	v_fma_f64 v[18:19], v[18:19], v[78:79], -v[80:81]
	;; [unrolled: 1-line block ×4, first 2 shown]
	v_fma_f64 v[44:45], v[104:105], v[70:71], v[150:151]
	v_fma_f64 v[48:49], v[96:97], v[78:79], v[154:155]
	v_add_f64 v[56:57], v[40:41], v[90:91]
	v_add_f64 v[50:51], v[36:37], -v[40:41]
	v_add_f64 v[52:53], v[88:89], -v[90:91]
	;; [unrolled: 1-line block ×5, first 2 shown]
	v_add_f64 v[64:65], v[36:37], v[88:89]
	v_add_f64 v[66:67], v[40:41], v[84:85]
	v_add_f64 v[68:69], v[22:23], -v[4:5]
	v_add_f64 v[74:75], v[4:5], v[26:27]
	v_add_f64 v[76:77], v[4:5], -v[22:23]
	v_add_f64 v[78:79], v[26:27], -v[16:17]
	v_add_f64 v[4:5], v[2:3], v[4:5]
	v_add_f64 v[100:101], v[30:31], v[34:35]
	;; [unrolled: 1-line block ×6, first 2 shown]
	v_add_f64 v[70:71], v[16:17], -v[26:27]
	v_add_f64 v[86:87], v[28:29], -v[30:31]
	;; [unrolled: 1-line block ×3, first 2 shown]
	v_add_f64 v[164:165], v[42:43], v[46:47]
	v_add_f64 v[174:175], v[12:13], v[18:19]
	v_add_f64 v[180:181], v[6:7], v[8:9]
	v_add_f64 v[96:97], v[14:15], -v[24:25]
	v_add_f64 v[136:137], v[20:21], -v[14:15]
	;; [unrolled: 1-line block ×3, first 2 shown]
	v_add_f64 v[14:15], v[0:1], v[14:15]
	v_add_f64 v[156:157], v[44:45], v[48:49]
	;; [unrolled: 1-line block ×4, first 2 shown]
	v_add_f64 v[154:155], v[12:13], -v[18:19]
	v_add_f64 v[168:169], v[6:7], -v[12:13]
	;; [unrolled: 1-line block ×3, first 2 shown]
	v_add_f64 v[12:13], v[38:39], v[12:13]
	v_add_f64 v[58:59], v[22:23], -v[16:17]
	v_add_f64 v[72:73], v[36:37], -v[88:89]
	v_add_f64 v[102:103], v[20:21], -v[10:11]
	v_add_f64 v[104:105], v[30:31], -v[28:29]
	v_add_f64 v[106:107], v[34:35], -v[32:33]
	v_add_f64 v[138:139], v[10:11], -v[24:25]
	v_add_f64 v[140:141], v[28:29], -v[32:33]
	v_add_f64 v[30:31], v[30:31], -v[34:35]
	v_add_f64 v[50:51], v[50:51], v[52:53]
	v_fma_f64 v[52:53], v[56:57], -0.5, v[84:85]
	v_add_f64 v[56:57], v[60:61], v[62:63]
	v_fma_f64 v[60:61], v[64:65], -0.5, v[84:85]
	v_add_f64 v[36:37], v[36:37], v[66:67]
	v_fma_f64 v[64:65], v[74:75], -0.5, v[2:3]
	v_add_f64 v[66:67], v[76:77], v[78:79]
	v_add_f64 v[4:5], v[22:23], v[4:5]
	v_fma_f64 v[22:23], v[100:101], -0.5, v[82:83]
	v_fma_f64 v[74:75], v[108:109], -0.5, v[82:83]
	v_add_f64 v[28:29], v[28:29], v[110:111]
	v_fma_f64 v[78:79], v[142:143], -0.5, v[0:1]
	v_fma_f64 v[0:1], v[148:149], -0.5, v[0:1]
	v_add_f64 v[146:147], v[24:25], -v[10:11]
	v_add_f64 v[150:151], v[42:43], -v[44:45]
	;; [unrolled: 1-line block ×4, first 2 shown]
	v_add_f64 v[62:63], v[68:69], v[70:71]
	v_add_f64 v[68:69], v[86:87], v[92:93]
	v_fma_f64 v[86:87], v[164:165], -0.5, v[112:113]
	v_fma_f64 v[100:101], v[174:175], -0.5, v[38:39]
	;; [unrolled: 1-line block ×3, first 2 shown]
	v_add_f64 v[158:159], v[6:7], -v[8:9]
	v_add_f64 v[172:173], v[42:43], -v[46:47]
	v_add_f64 v[14:15], v[20:21], v[14:15]
	v_fma_f64 v[82:83], v[156:157], -0.5, v[112:113]
	v_add_f64 v[42:43], v[42:43], v[166:167]
	v_add_f64 v[40:41], v[40:41], -v[90:91]
	v_fma_f64 v[2:3], v[80:81], -0.5, v[2:3]
	v_add_f64 v[6:7], v[6:7], v[12:13]
	v_add_f64 v[70:71], v[104:105], v[106:107]
	;; [unrolled: 1-line block ×3, first 2 shown]
	v_fma_f64 v[12:13], v[58:59], s[14:15], v[52:53]
	v_fma_f64 v[52:53], v[58:59], s[6:7], v[52:53]
	;; [unrolled: 1-line block ×4, first 2 shown]
	v_add_f64 v[36:37], v[88:89], v[36:37]
	v_fma_f64 v[88:89], v[72:73], s[6:7], v[64:65]
	v_fma_f64 v[64:65], v[72:73], s[14:15], v[64:65]
	v_add_f64 v[4:5], v[4:5], v[16:17]
	v_fma_f64 v[16:17], v[102:103], s[14:15], v[22:23]
	v_fma_f64 v[22:23], v[102:103], s[6:7], v[22:23]
	;; [unrolled: 1-line block ×3, first 2 shown]
	v_add_f64 v[28:29], v[32:33], v[28:29]
	v_fma_f64 v[136:137], v[30:31], s[14:15], v[0:1]
	v_add_f64 v[162:163], v[48:49], -v[46:47]
	v_add_f64 v[178:179], v[18:19], -v[8:9]
	v_add_f64 v[80:81], v[144:145], v[146:147]
	v_fma_f64 v[74:75], v[96:97], s[14:15], v[74:75]
	v_fma_f64 v[142:143], v[154:155], s[6:7], v[86:87]
	;; [unrolled: 1-line block ×5, first 2 shown]
	v_add_f64 v[152:153], v[46:47], -v[48:49]
	v_add_f64 v[170:171], v[8:9], -v[18:19]
	v_add_f64 v[10:11], v[14:15], v[10:11]
	v_fma_f64 v[14:15], v[158:159], s[14:15], v[82:83]
	v_fma_f64 v[82:83], v[158:159], s[6:7], v[82:83]
	v_add_f64 v[42:43], v[46:47], v[42:43]
	v_fma_f64 v[46:47], v[172:173], s[6:7], v[100:101]
	v_fma_f64 v[100:101], v[172:173], s[14:15], v[100:101]
	;; [unrolled: 1-line block ×7, first 2 shown]
	v_add_f64 v[8:9], v[6:7], v[8:9]
	v_fma_f64 v[12:13], v[54:55], s[4:5], v[12:13]
	v_fma_f64 v[52:53], v[54:55], s[8:9], v[52:53]
	;; [unrolled: 1-line block ×4, first 2 shown]
	v_add_f64 v[2:3], v[90:91], v[36:37]
	v_fma_f64 v[60:61], v[40:41], s[8:9], v[88:89]
	v_fma_f64 v[64:65], v[40:41], s[4:5], v[64:65]
	;; [unrolled: 1-line block ×4, first 2 shown]
	v_add_f64 v[6:7], v[34:35], v[28:29]
	v_fma_f64 v[28:29], v[140:141], s[8:9], v[136:137]
	v_add_f64 v[84:85], v[160:161], v[162:163]
	v_add_f64 v[104:105], v[176:177], v[178:179]
	v_fma_f64 v[74:75], v[102:103], s[8:9], v[74:75]
	v_fma_f64 v[86:87], v[158:159], s[8:9], v[86:87]
	;; [unrolled: 1-line block ×3, first 2 shown]
	v_add_f64 v[20:21], v[150:151], v[152:153]
	v_add_f64 v[92:93], v[168:169], v[170:171]
	v_fma_f64 v[82:83], v[154:155], s[8:9], v[82:83]
	v_fma_f64 v[100:101], v[44:45], s[4:5], v[100:101]
	;; [unrolled: 1-line block ×12, first 2 shown]
	v_add_f64 v[0:1], v[4:5], v[26:27]
	v_add_f64 v[4:5], v[10:11], v[24:25]
	;; [unrolled: 1-line block ×4, first 2 shown]
	v_fma_f64 v[34:35], v[68:69], s[0:1], v[36:37]
	v_fma_f64 v[38:39], v[70:71], s[0:1], v[40:41]
	;; [unrolled: 1-line block ×22, first 2 shown]
	v_add_co_u32 v94, vcc_lo, 0x2000, v116
	v_fma_f64 v[12:13], v[62:63], s[0:1], v[60:61]
	v_fma_f64 v[20:21], v[66:67], s[0:1], v[88:89]
	v_add_co_ci_u32_e32 v95, vcc_lo, 0, v117, vcc_lo
	v_add_co_u32 v60, vcc_lo, 0x4000, v116
	v_add_co_ci_u32_e32 v61, vcc_lo, 0, v117, vcc_lo
	v_add_co_u32 v62, vcc_lo, 0x3000, v116
	v_add_co_ci_u32_e32 v63, vcc_lo, 0, v117, vcc_lo
	global_store_dwordx4 v[98:99], v[8:11], off
	global_store_dwordx4 v[60:61], v[36:39], off offset:1296
	global_store_dwordx4 v[118:119], v[52:55], off offset:2032
	;; [unrolled: 1-line block ×9, first 2 shown]
	global_store_dwordx4 v[114:115], v[0:3], off
	global_store_dwordx4 v[126:127], v[24:27], off offset:2032
	global_store_dwordx4 v[128:129], v[16:19], off offset:2016
	;; [unrolled: 1-line block ×4, first 2 shown]
.LBB0_16:
	s_endpgm
	.section	.rodata,"a",@progbits
	.p2align	6, 0x0
	.amdhsa_kernel fft_rtc_fwd_len1275_factors_17_3_5_5_wgs_255_tpt_85_halfLds_dp_op_CI_CI_unitstride_sbrr_dirReg
		.amdhsa_group_segment_fixed_size 0
		.amdhsa_private_segment_fixed_size 0
		.amdhsa_kernarg_size 104
		.amdhsa_user_sgpr_count 6
		.amdhsa_user_sgpr_private_segment_buffer 1
		.amdhsa_user_sgpr_dispatch_ptr 0
		.amdhsa_user_sgpr_queue_ptr 0
		.amdhsa_user_sgpr_kernarg_segment_ptr 1
		.amdhsa_user_sgpr_dispatch_id 0
		.amdhsa_user_sgpr_flat_scratch_init 0
		.amdhsa_user_sgpr_private_segment_size 0
		.amdhsa_wavefront_size32 1
		.amdhsa_uses_dynamic_stack 0
		.amdhsa_system_sgpr_private_segment_wavefront_offset 0
		.amdhsa_system_sgpr_workgroup_id_x 1
		.amdhsa_system_sgpr_workgroup_id_y 0
		.amdhsa_system_sgpr_workgroup_id_z 0
		.amdhsa_system_sgpr_workgroup_info 0
		.amdhsa_system_vgpr_workitem_id 0
		.amdhsa_next_free_vgpr 222
		.amdhsa_next_free_sgpr 56
		.amdhsa_reserve_vcc 1
		.amdhsa_reserve_flat_scratch 0
		.amdhsa_float_round_mode_32 0
		.amdhsa_float_round_mode_16_64 0
		.amdhsa_float_denorm_mode_32 3
		.amdhsa_float_denorm_mode_16_64 3
		.amdhsa_dx10_clamp 1
		.amdhsa_ieee_mode 1
		.amdhsa_fp16_overflow 0
		.amdhsa_workgroup_processor_mode 1
		.amdhsa_memory_ordered 1
		.amdhsa_forward_progress 0
		.amdhsa_shared_vgpr_count 0
		.amdhsa_exception_fp_ieee_invalid_op 0
		.amdhsa_exception_fp_denorm_src 0
		.amdhsa_exception_fp_ieee_div_zero 0
		.amdhsa_exception_fp_ieee_overflow 0
		.amdhsa_exception_fp_ieee_underflow 0
		.amdhsa_exception_fp_ieee_inexact 0
		.amdhsa_exception_int_div_zero 0
	.end_amdhsa_kernel
	.text
.Lfunc_end0:
	.size	fft_rtc_fwd_len1275_factors_17_3_5_5_wgs_255_tpt_85_halfLds_dp_op_CI_CI_unitstride_sbrr_dirReg, .Lfunc_end0-fft_rtc_fwd_len1275_factors_17_3_5_5_wgs_255_tpt_85_halfLds_dp_op_CI_CI_unitstride_sbrr_dirReg
                                        ; -- End function
	.section	.AMDGPU.csdata,"",@progbits
; Kernel info:
; codeLenInByte = 15388
; NumSgprs: 58
; NumVgprs: 222
; ScratchSize: 0
; MemoryBound: 1
; FloatMode: 240
; IeeeMode: 1
; LDSByteSize: 0 bytes/workgroup (compile time only)
; SGPRBlocks: 7
; VGPRBlocks: 27
; NumSGPRsForWavesPerEU: 58
; NumVGPRsForWavesPerEU: 222
; Occupancy: 4
; WaveLimiterHint : 1
; COMPUTE_PGM_RSRC2:SCRATCH_EN: 0
; COMPUTE_PGM_RSRC2:USER_SGPR: 6
; COMPUTE_PGM_RSRC2:TRAP_HANDLER: 0
; COMPUTE_PGM_RSRC2:TGID_X_EN: 1
; COMPUTE_PGM_RSRC2:TGID_Y_EN: 0
; COMPUTE_PGM_RSRC2:TGID_Z_EN: 0
; COMPUTE_PGM_RSRC2:TIDIG_COMP_CNT: 0
	.text
	.p2alignl 6, 3214868480
	.fill 48, 4, 3214868480
	.type	__hip_cuid_748b8d45730a77c8,@object ; @__hip_cuid_748b8d45730a77c8
	.section	.bss,"aw",@nobits
	.globl	__hip_cuid_748b8d45730a77c8
__hip_cuid_748b8d45730a77c8:
	.byte	0                               ; 0x0
	.size	__hip_cuid_748b8d45730a77c8, 1

	.ident	"AMD clang version 19.0.0git (https://github.com/RadeonOpenCompute/llvm-project roc-6.4.0 25133 c7fe45cf4b819c5991fe208aaa96edf142730f1d)"
	.section	".note.GNU-stack","",@progbits
	.addrsig
	.addrsig_sym __hip_cuid_748b8d45730a77c8
	.amdgpu_metadata
---
amdhsa.kernels:
  - .args:
      - .actual_access:  read_only
        .address_space:  global
        .offset:         0
        .size:           8
        .value_kind:     global_buffer
      - .offset:         8
        .size:           8
        .value_kind:     by_value
      - .actual_access:  read_only
        .address_space:  global
        .offset:         16
        .size:           8
        .value_kind:     global_buffer
      - .actual_access:  read_only
        .address_space:  global
        .offset:         24
        .size:           8
        .value_kind:     global_buffer
      - .actual_access:  read_only
        .address_space:  global
        .offset:         32
        .size:           8
        .value_kind:     global_buffer
      - .offset:         40
        .size:           8
        .value_kind:     by_value
      - .actual_access:  read_only
        .address_space:  global
        .offset:         48
        .size:           8
        .value_kind:     global_buffer
      - .actual_access:  read_only
        .address_space:  global
        .offset:         56
        .size:           8
        .value_kind:     global_buffer
      - .offset:         64
        .size:           4
        .value_kind:     by_value
      - .actual_access:  read_only
        .address_space:  global
        .offset:         72
        .size:           8
        .value_kind:     global_buffer
      - .actual_access:  read_only
        .address_space:  global
        .offset:         80
        .size:           8
        .value_kind:     global_buffer
      - .actual_access:  read_only
        .address_space:  global
        .offset:         88
        .size:           8
        .value_kind:     global_buffer
      - .actual_access:  write_only
        .address_space:  global
        .offset:         96
        .size:           8
        .value_kind:     global_buffer
    .group_segment_fixed_size: 0
    .kernarg_segment_align: 8
    .kernarg_segment_size: 104
    .language:       OpenCL C
    .language_version:
      - 2
      - 0
    .max_flat_workgroup_size: 255
    .name:           fft_rtc_fwd_len1275_factors_17_3_5_5_wgs_255_tpt_85_halfLds_dp_op_CI_CI_unitstride_sbrr_dirReg
    .private_segment_fixed_size: 0
    .sgpr_count:     58
    .sgpr_spill_count: 0
    .symbol:         fft_rtc_fwd_len1275_factors_17_3_5_5_wgs_255_tpt_85_halfLds_dp_op_CI_CI_unitstride_sbrr_dirReg.kd
    .uniform_work_group_size: 1
    .uses_dynamic_stack: false
    .vgpr_count:     222
    .vgpr_spill_count: 0
    .wavefront_size: 32
    .workgroup_processor_mode: 1
amdhsa.target:   amdgcn-amd-amdhsa--gfx1030
amdhsa.version:
  - 1
  - 2
...

	.end_amdgpu_metadata
